;; amdgpu-corpus repo=ROCm/rocFFT kind=compiled arch=gfx906 opt=O3
	.text
	.amdgcn_target "amdgcn-amd-amdhsa--gfx906"
	.amdhsa_code_object_version 6
	.protected	bluestein_single_fwd_len2040_dim1_half_op_CI_CI ; -- Begin function bluestein_single_fwd_len2040_dim1_half_op_CI_CI
	.globl	bluestein_single_fwd_len2040_dim1_half_op_CI_CI
	.p2align	8
	.type	bluestein_single_fwd_len2040_dim1_half_op_CI_CI,@function
bluestein_single_fwd_len2040_dim1_half_op_CI_CI: ; @bluestein_single_fwd_len2040_dim1_half_op_CI_CI
; %bb.0:
	s_mov_b64 s[54:55], s[2:3]
	s_mov_b64 s[52:53], s[0:1]
	s_load_dwordx4 s[0:3], s[4:5], 0x28
	v_mul_u32_u24_e32 v1, 0x182, v0
	v_add_u32_sdwa v230, s6, v1 dst_sel:DWORD dst_unused:UNUSED_PAD src0_sel:DWORD src1_sel:WORD_1
	v_mov_b32_e32 v231, 0
	s_add_u32 s52, s52, s7
	s_waitcnt lgkmcnt(0)
	v_cmp_gt_u64_e32 vcc, s[0:1], v[230:231]
	s_addc_u32 s53, s53, 0
	s_and_saveexec_b64 s[0:1], vcc
	s_cbranch_execz .LBB0_23
; %bb.1:
	s_load_dwordx2 s[6:7], s[4:5], 0x0
	s_load_dwordx2 s[12:13], s[4:5], 0x38
	s_movk_i32 s0, 0xaa
	v_mul_lo_u16_sdwa v1, v1, s0 dst_sel:DWORD dst_unused:UNUSED_PAD src0_sel:WORD_1 src1_sel:DWORD
	v_sub_u16_e32 v231, v0, v1
	s_movk_i32 s0, 0x78
	v_cmp_gt_u16_e64 s[0:1], s0, v231
	v_lshlrev_b32_e32 v59, 2, v231
	s_and_saveexec_b64 s[14:15], s[0:1]
	s_cbranch_execz .LBB0_3
; %bb.2:
	s_load_dwordx2 s[8:9], s[4:5], 0x18
	s_waitcnt lgkmcnt(0)
	v_mov_b32_e32 v14, s7
	v_add_u32_e32 v15, 0x200, v59
	v_or_b32_e32 v18, 0x780, v231
	v_lshlrev_b32_e32 v20, 2, v18
	s_load_dwordx4 s[8:11], s[8:9], 0x0
	s_waitcnt lgkmcnt(0)
	v_mad_u64_u32 v[0:1], s[16:17], s10, v230, 0
	v_mad_u64_u32 v[2:3], s[16:17], s8, v231, 0
	;; [unrolled: 1-line block ×4, first 2 shown]
	v_mov_b32_e32 v1, v4
	v_lshlrev_b64 v[0:1], 2, v[0:1]
	v_mov_b32_e32 v3, v5
	v_mov_b32_e32 v6, s3
	v_lshlrev_b64 v[2:3], 2, v[2:3]
	v_add_co_u32_e32 v7, vcc, s2, v0
	v_addc_co_u32_e32 v8, vcc, v6, v1, vcc
	v_add_co_u32_e32 v0, vcc, v7, v2
	s_mul_i32 s2, s9, 0x1e0
	s_mul_hi_u32 s3, s8, 0x1e0
	v_addc_co_u32_e32 v1, vcc, v8, v3, vcc
	s_add_i32 s3, s3, s2
	s_mul_i32 s2, s8, 0x1e0
	v_mov_b32_e32 v3, s3
	v_add_co_u32_e32 v2, vcc, s2, v0
	v_addc_co_u32_e32 v3, vcc, v1, v3, vcc
	global_load_dword v4, v[0:1], off
	global_load_dword v5, v[2:3], off
	global_load_dword v6, v59, s[6:7]
	global_load_dword v9, v59, s[6:7] offset:480
	v_mov_b32_e32 v1, s3
	v_add_co_u32_e32 v0, vcc, s2, v2
	v_addc_co_u32_e32 v1, vcc, v3, v1, vcc
	global_load_dword v2, v[0:1], off
	global_load_dword v3, v59, s[6:7] offset:960
	v_mov_b32_e32 v10, s3
	v_add_co_u32_e32 v0, vcc, s2, v0
	v_addc_co_u32_e32 v1, vcc, v1, v10, vcc
	global_load_dword v10, v[0:1], off
	;; [unrolled: 5-line block ×3, first 2 shown]
	global_load_dword v13, v59, s[6:7] offset:1920
	v_add_co_u32_e32 v19, vcc, s6, v59
	v_addc_co_u32_e32 v14, vcc, 0, v14, vcc
	v_mov_b32_e32 v21, s3
	v_add_co_u32_e32 v0, vcc, s2, v0
	v_addc_co_u32_e32 v1, vcc, v1, v21, vcc
	global_load_dword v16, v59, s[6:7] offset:2400
	global_load_dword v17, v59, s[6:7] offset:2880
	v_mov_b32_e32 v22, s3
	global_load_dword v21, v[0:1], off
	v_add_co_u32_e32 v0, vcc, s2, v0
	v_addc_co_u32_e32 v1, vcc, v1, v22, vcc
	global_load_dword v20, v20, s[6:7]
	s_movk_i32 s10, 0x1000
	v_mov_b32_e32 v32, s3
	s_waitcnt vmcnt(13)
	v_lshrrev_b32_e32 v22, 16, v4
	s_waitcnt vmcnt(11)
	v_mul_f16_sdwa v23, v6, v4 dst_sel:DWORD dst_unused:UNUSED_PAD src0_sel:WORD_1 src1_sel:DWORD
	v_mul_f16_sdwa v24, v6, v22 dst_sel:DWORD dst_unused:UNUSED_PAD src0_sel:WORD_1 src1_sel:DWORD
	v_fma_f16 v22, v6, v22, -v23
	v_lshrrev_b32_e32 v23, 16, v5
	s_waitcnt vmcnt(10)
	v_mul_f16_sdwa v26, v9, v5 dst_sel:DWORD dst_unused:UNUSED_PAD src0_sel:WORD_1 src1_sel:DWORD
	v_fma_f16 v4, v6, v4, v24
	v_mul_f16_sdwa v6, v9, v23 dst_sel:DWORD dst_unused:UNUSED_PAD src0_sel:WORD_1 src1_sel:DWORD
	s_waitcnt vmcnt(9)
	v_lshrrev_b32_e32 v24, 16, v2
	v_fma_f16 v23, v9, v23, -v26
	s_waitcnt vmcnt(8)
	v_mul_f16_sdwa v26, v3, v2 dst_sel:DWORD dst_unused:UNUSED_PAD src0_sel:WORD_1 src1_sel:DWORD
	v_pack_b32_f16 v4, v4, v22
	v_fma_f16 v5, v9, v5, v6
	v_mul_f16_sdwa v6, v3, v24 dst_sel:DWORD dst_unused:UNUSED_PAD src0_sel:WORD_1 src1_sel:DWORD
	s_waitcnt vmcnt(7)
	v_lshrrev_b32_e32 v22, 16, v10
	v_fma_f16 v9, v3, v24, -v26
	s_waitcnt vmcnt(6)
	v_mul_f16_sdwa v24, v11, v10 dst_sel:DWORD dst_unused:UNUSED_PAD src0_sel:WORD_1 src1_sel:DWORD
	v_fma_f16 v2, v3, v2, v6
	v_mul_f16_sdwa v3, v11, v22 dst_sel:DWORD dst_unused:UNUSED_PAD src0_sel:WORD_1 src1_sel:DWORD
	v_fma_f16 v6, v11, v22, -v24
	v_fma_f16 v3, v11, v10, v3
	v_pack_b32_f16 v5, v5, v23
	v_pack_b32_f16 v2, v2, v9
	v_pack_b32_f16 v3, v3, v6
	global_load_dword v11, v[0:1], off
	s_waitcnt vmcnt(6)
	v_lshrrev_b32_e32 v22, 16, v12
	ds_write2_b32 v59, v4, v5 offset1:120
	ds_write2_b32 v15, v2, v3 offset0:112 offset1:232
	v_mov_b32_e32 v2, s3
	v_add_co_u32_e32 v0, vcc, s2, v0
	s_waitcnt vmcnt(5)
	v_mul_f16_sdwa v4, v13, v22 dst_sel:DWORD dst_unused:UNUSED_PAD src0_sel:WORD_1 src1_sel:DWORD
	v_addc_co_u32_e32 v1, vcc, v1, v2, vcc
	v_mul_f16_sdwa v23, v13, v12 dst_sel:DWORD dst_unused:UNUSED_PAD src0_sel:WORD_1 src1_sel:DWORD
	v_fma_f16 v10, v13, v12, v4
	global_load_dword v12, v[0:1], off
	v_add_co_u32_e32 v0, vcc, s2, v0
	v_addc_co_u32_e32 v1, vcc, v1, v2, vcc
	v_fma_f16 v9, v13, v22, -v23
	global_load_dword v13, v[0:1], off
	global_load_dword v15, v59, s[6:7] offset:3360
	global_load_dword v22, v59, s[6:7] offset:3840
	v_add_co_u32_e32 v0, vcc, s2, v0
	v_addc_co_u32_e32 v1, vcc, v1, v2, vcc
	v_add_co_u32_e32 v2, vcc, s10, v19
	global_load_dword v23, v[0:1], off
	v_addc_co_u32_e32 v3, vcc, 0, v14, vcc
	global_load_dword v14, v[2:3], off offset:224
	v_mov_b32_e32 v4, s3
	v_add_co_u32_e32 v0, vcc, s2, v0
	v_addc_co_u32_e32 v1, vcc, v1, v4, vcc
	global_load_dword v19, v[0:1], off
	v_add_co_u32_e32 v0, vcc, s2, v0
	v_addc_co_u32_e32 v1, vcc, v1, v4, vcc
	global_load_dword v24, v[0:1], off
	global_load_dword v26, v[2:3], off offset:704
	v_add_co_u32_e32 v0, vcc, s2, v0
	v_addc_co_u32_e32 v1, vcc, v1, v4, vcc
	global_load_dword v27, v[2:3], off offset:1184
	global_load_dword v28, v[0:1], off
	v_add_co_u32_e32 v0, vcc, s2, v0
	v_addc_co_u32_e32 v1, vcc, v1, v4, vcc
	global_load_dword v29, v[0:1], off
	global_load_dword v30, v[2:3], off offset:1664
	v_mad_u64_u32 v[4:5], s[10:11], s8, v18, 0
	global_load_dword v31, v[2:3], off offset:2144
	v_mov_b32_e32 v6, s3
	v_add_co_u32_e32 v0, vcc, s2, v0
	v_addc_co_u32_e32 v1, vcc, v1, v6, vcc
	v_mad_u64_u32 v[5:6], s[8:9], s9, v18, v[5:6]
	global_load_dword v6, v[2:3], off offset:2624
	global_load_dword v33, v[0:1], off
	v_add_co_u32_e32 v0, vcc, s2, v0
	v_addc_co_u32_e32 v1, vcc, v1, v32, vcc
	global_load_dword v18, v[0:1], off
	global_load_dword v32, v[2:3], off offset:3104
	v_lshlrev_b64 v[0:1], 2, v[4:5]
	s_waitcnt vmcnt(20)
	v_lshrrev_b32_e32 v2, 16, v21
	v_add_co_u32_e32 v0, vcc, v7, v0
	v_addc_co_u32_e32 v1, vcc, v8, v1, vcc
	global_load_dword v0, v[0:1], off
	v_mul_f16_sdwa v3, v16, v2 dst_sel:DWORD dst_unused:UNUSED_PAD src0_sel:WORD_1 src1_sel:DWORD
	v_mul_f16_sdwa v4, v16, v21 dst_sel:DWORD dst_unused:UNUSED_PAD src0_sel:WORD_1 src1_sel:DWORD
	v_fma_f16 v3, v16, v21, v3
	v_fma_f16 v2, v16, v2, -v4
	v_pack_b32_f16 v1, v10, v9
	v_pack_b32_f16 v2, v3, v2
	v_add_u32_e32 v3, 0x600, v59
	ds_write2_b32 v3, v1, v2 offset0:96 offset1:216
	s_waitcnt vmcnt(19)
	v_lshrrev_b32_e32 v1, 16, v11
	v_mul_f16_sdwa v2, v17, v1 dst_sel:DWORD dst_unused:UNUSED_PAD src0_sel:WORD_1 src1_sel:DWORD
	v_mul_f16_sdwa v3, v17, v11 dst_sel:DWORD dst_unused:UNUSED_PAD src0_sel:WORD_1 src1_sel:DWORD
	v_fma_f16 v2, v17, v11, v2
	v_fma_f16 v1, v17, v1, -v3
	v_pack_b32_f16 v1, v2, v1
	s_waitcnt vmcnt(18)
	v_lshrrev_b32_e32 v2, 16, v12
	s_waitcnt vmcnt(16)
	v_mul_f16_sdwa v3, v15, v2 dst_sel:DWORD dst_unused:UNUSED_PAD src0_sel:WORD_1 src1_sel:DWORD
	v_mul_f16_sdwa v4, v15, v12 dst_sel:DWORD dst_unused:UNUSED_PAD src0_sel:WORD_1 src1_sel:DWORD
	v_fma_f16 v3, v15, v12, v3
	v_fma_f16 v2, v15, v2, -v4
	v_pack_b32_f16 v2, v3, v2
	v_add_u32_e32 v3, 0xa00, v59
	ds_write2_b32 v3, v1, v2 offset0:80 offset1:200
	v_lshrrev_b32_e32 v1, 16, v13
	s_waitcnt vmcnt(15)
	v_mul_f16_sdwa v2, v22, v1 dst_sel:DWORD dst_unused:UNUSED_PAD src0_sel:WORD_1 src1_sel:DWORD
	v_mul_f16_sdwa v3, v22, v13 dst_sel:DWORD dst_unused:UNUSED_PAD src0_sel:WORD_1 src1_sel:DWORD
	v_fma_f16 v2, v22, v13, v2
	v_fma_f16 v1, v22, v1, -v3
	v_pack_b32_f16 v1, v2, v1
	s_waitcnt vmcnt(14)
	v_lshrrev_b32_e32 v2, 16, v23
	s_waitcnt vmcnt(13)
	v_mul_f16_sdwa v3, v14, v2 dst_sel:DWORD dst_unused:UNUSED_PAD src0_sel:WORD_1 src1_sel:DWORD
	v_mul_f16_sdwa v4, v14, v23 dst_sel:DWORD dst_unused:UNUSED_PAD src0_sel:WORD_1 src1_sel:DWORD
	v_fma_f16 v3, v14, v23, v3
	v_fma_f16 v2, v14, v2, -v4
	v_pack_b32_f16 v2, v3, v2
	v_add_u32_e32 v3, 0xe00, v59
	ds_write2_b32 v3, v1, v2 offset0:64 offset1:184
	s_waitcnt vmcnt(12)
	v_lshrrev_b32_e32 v1, 16, v19
	s_waitcnt vmcnt(10)
	v_mul_f16_sdwa v2, v26, v1 dst_sel:DWORD dst_unused:UNUSED_PAD src0_sel:WORD_1 src1_sel:DWORD
	v_mul_f16_sdwa v3, v26, v19 dst_sel:DWORD dst_unused:UNUSED_PAD src0_sel:WORD_1 src1_sel:DWORD
	v_fma_f16 v2, v26, v19, v2
	v_fma_f16 v1, v26, v1, -v3
	v_pack_b32_f16 v1, v2, v1
	v_lshrrev_b32_e32 v2, 16, v24
	s_waitcnt vmcnt(9)
	v_mul_f16_sdwa v3, v27, v2 dst_sel:DWORD dst_unused:UNUSED_PAD src0_sel:WORD_1 src1_sel:DWORD
	v_mul_f16_sdwa v4, v27, v24 dst_sel:DWORD dst_unused:UNUSED_PAD src0_sel:WORD_1 src1_sel:DWORD
	v_fma_f16 v3, v27, v24, v3
	v_fma_f16 v2, v27, v2, -v4
	v_pack_b32_f16 v2, v3, v2
	v_add_u32_e32 v3, 0x1200, v59
	ds_write2_b32 v3, v1, v2 offset0:48 offset1:168
	s_waitcnt vmcnt(8)
	v_lshrrev_b32_e32 v1, 16, v28
	s_waitcnt vmcnt(6)
	v_mul_f16_sdwa v2, v30, v1 dst_sel:DWORD dst_unused:UNUSED_PAD src0_sel:WORD_1 src1_sel:DWORD
	v_mul_f16_sdwa v3, v30, v28 dst_sel:DWORD dst_unused:UNUSED_PAD src0_sel:WORD_1 src1_sel:DWORD
	v_fma_f16 v2, v30, v28, v2
	v_fma_f16 v1, v30, v1, -v3
	v_pack_b32_f16 v1, v2, v1
	v_lshrrev_b32_e32 v2, 16, v29
	s_waitcnt vmcnt(5)
	v_mul_f16_sdwa v3, v31, v2 dst_sel:DWORD dst_unused:UNUSED_PAD src0_sel:WORD_1 src1_sel:DWORD
	v_mul_f16_sdwa v4, v31, v29 dst_sel:DWORD dst_unused:UNUSED_PAD src0_sel:WORD_1 src1_sel:DWORD
	v_fma_f16 v3, v31, v29, v3
	v_fma_f16 v2, v31, v2, -v4
	v_pack_b32_f16 v2, v3, v2
	v_add_u32_e32 v3, 0x1600, v59
	ds_write2_b32 v3, v1, v2 offset0:32 offset1:152
	s_waitcnt vmcnt(3)
	v_lshrrev_b32_e32 v1, 16, v33
	v_mul_f16_sdwa v2, v6, v1 dst_sel:DWORD dst_unused:UNUSED_PAD src0_sel:WORD_1 src1_sel:DWORD
	v_mul_f16_sdwa v3, v6, v33 dst_sel:DWORD dst_unused:UNUSED_PAD src0_sel:WORD_1 src1_sel:DWORD
	v_fma_f16 v2, v6, v33, v2
	v_fma_f16 v1, v6, v1, -v3
	v_pack_b32_f16 v1, v2, v1
	s_waitcnt vmcnt(2)
	v_lshrrev_b32_e32 v2, 16, v18
	s_waitcnt vmcnt(1)
	v_mul_f16_sdwa v3, v32, v2 dst_sel:DWORD dst_unused:UNUSED_PAD src0_sel:WORD_1 src1_sel:DWORD
	v_mul_f16_sdwa v4, v32, v18 dst_sel:DWORD dst_unused:UNUSED_PAD src0_sel:WORD_1 src1_sel:DWORD
	v_fma_f16 v3, v32, v18, v3
	v_fma_f16 v2, v32, v2, -v4
	v_pack_b32_f16 v2, v3, v2
	v_add_u32_e32 v3, 0x1a00, v59
	ds_write2_b32 v3, v1, v2 offset0:16 offset1:136
	s_waitcnt vmcnt(0)
	v_lshrrev_b32_e32 v1, 16, v0
	v_mul_f16_sdwa v2, v20, v1 dst_sel:DWORD dst_unused:UNUSED_PAD src0_sel:WORD_1 src1_sel:DWORD
	v_fma_f16 v2, v20, v0, v2
	v_mul_f16_sdwa v0, v20, v0 dst_sel:DWORD dst_unused:UNUSED_PAD src0_sel:WORD_1 src1_sel:DWORD
	v_fma_f16 v0, v20, v1, -v0
	v_pack_b32_f16 v0, v2, v0
	ds_write_b32 v59, v0 offset:7680
.LBB0_3:
	s_or_b64 exec, exec, s[14:15]
	s_load_dwordx2 s[8:9], s[4:5], 0x20
	s_load_dwordx2 s[2:3], s[4:5], 0x8
	v_mov_b32_e32 v0, 0
	s_waitcnt lgkmcnt(0)
	s_barrier
	s_waitcnt lgkmcnt(0)
                                        ; implicit-def: $vgpr16
                                        ; implicit-def: $vgpr11
                                        ; implicit-def: $vgpr9
                                        ; implicit-def: $vgpr7
                                        ; implicit-def: $vgpr5
                                        ; implicit-def: $vgpr3
                                        ; implicit-def: $vgpr13
                                        ; implicit-def: $vgpr15
                                        ; implicit-def: $vgpr50
	s_and_saveexec_b64 s[4:5], s[0:1]
	s_cbranch_execz .LBB0_5
; %bb.4:
	v_add_u32_e32 v2, 0x200, v59
	ds_read2_b32 v[14:15], v2 offset0:112 offset1:232
	v_add_u32_e32 v2, 0x600, v59
	ds_read2_b32 v[12:13], v2 offset0:96 offset1:216
	v_add_u32_e32 v2, 0xa00, v59
	v_add_u32_e32 v4, 0xe00, v59
	;; [unrolled: 1-line block ×5, first 2 shown]
	ds_read2_b32 v[0:1], v59 offset1:120
	ds_read2_b32 v[2:3], v2 offset0:80 offset1:200
	ds_read2_b32 v[4:5], v4 offset0:64 offset1:184
	;; [unrolled: 1-line block ×5, first 2 shown]
	ds_read_b32 v16, v59 offset:7680
	s_waitcnt lgkmcnt(8)
	v_alignbit_b32 v50, v14, v14, 16
.LBB0_5:
	s_or_b64 exec, exec, s[4:5]
	s_waitcnt lgkmcnt(0)
	v_pk_add_f16 v14, v1, v16 neg_lo:[0,1] neg_hi:[0,1]
	s_mov_b32 s27, 0xbbf7
	v_pk_add_f16 v17, v16, v1
	s_movk_i32 s15, 0x2de8
	v_mul_f16_sdwa v27, v14, s27 dst_sel:DWORD dst_unused:UNUSED_PAD src0_sel:WORD_1 src1_sel:DWORD
	s_mov_b32 s11, 0xbbb2
	v_fma_f16 v18, v17, s15, v27
	s_mov_b32 s16, 0xb461
	v_mul_f16_sdwa v31, v14, s11 dst_sel:DWORD dst_unused:UNUSED_PAD src0_sel:WORD_1 src1_sel:DWORD
	v_add_f16_e32 v20, v18, v0
	v_fma_f16 v18, v17, s16, v31
	v_add_f16_e32 v21, v18, v0
	v_pk_add_f16 v18, v11, v50 op_sel:[1,0] op_sel_hi:[0,1]
	v_pk_add_f16 v19, v50, v11 op_sel:[1,0] op_sel_hi:[0,1] neg_lo:[0,1] neg_hi:[0,1]
	s_mov_b32 s17, 0xb1e1
	v_lshrrev_b32_e32 v42, 16, v18
	s_mov_b32 s18, 0xbbdd
	v_mul_f16_sdwa v30, v19, s17 dst_sel:DWORD dst_unused:UNUSED_PAD src0_sel:WORD_1 src1_sel:DWORD
	s_movk_i32 s29, 0x3836
	v_fma_f16 v22, v42, s18, v30
	s_mov_b32 s19, 0xbacd
	v_mul_f16_sdwa v41, v19, s29 dst_sel:DWORD dst_unused:UNUSED_PAD src0_sel:WORD_1 src1_sel:DWORD
	v_add_f16_e32 v22, v22, v20
	v_fma_f16 v20, v42, s19, v41
	v_add_f16_e32 v23, v20, v21
	v_pk_add_f16 v20, v15, v10 neg_lo:[0,1] neg_hi:[0,1]
	s_movk_i32 s28, 0x3bb2
	v_pk_add_f16 v21, v10, v15
	v_mul_f16_sdwa v39, v20, s28 dst_sel:DWORD dst_unused:UNUSED_PAD src0_sel:WORD_1 src1_sel:DWORD
	s_movk_i32 s20, 0x3964
	s_movk_i32 s14, 0x39e9
	v_fma_f16 v24, v21, s16, v39
	v_mul_f16_sdwa v45, v20, s20 dst_sel:DWORD dst_unused:UNUSED_PAD src0_sel:WORD_1 src1_sel:DWORD
	v_add_f16_e32 v24, v24, v22
	v_fma_f16 v22, v21, s14, v45
	v_add_f16_e32 v26, v22, v23
	v_pk_add_f16 v22, v12, v9 neg_lo:[0,1] neg_hi:[0,1]
	s_movk_i32 s22, 0x35c8
	s_movk_i32 s10, 0x3b76
	v_pk_add_f16 v23, v9, v12
	v_mul_f16_sdwa v44, v22, s22 dst_sel:DWORD dst_unused:UNUSED_PAD src0_sel:WORD_1 src1_sel:DWORD
	s_mov_b32 s30, 0xbb29
	v_fma_f16 v28, v23, s10, v44
	s_movk_i32 s21, 0x3722
	v_mul_f16_sdwa v47, v22, s30 dst_sel:DWORD dst_unused:UNUSED_PAD src0_sel:WORD_1 src1_sel:DWORD
	v_add_f16_e32 v28, v28, v24
	v_fma_f16 v24, v23, s21, v47
	v_add_f16_e32 v29, v24, v26
	v_pk_add_f16 v24, v13, v8 neg_lo:[0,1] neg_hi:[0,1]
	v_pk_add_f16 v26, v8, v13
	v_mul_f16_sdwa v46, v24, s30 dst_sel:DWORD dst_unused:UNUSED_PAD src0_sel:WORD_1 src1_sel:DWORD
	v_fma_f16 v32, v26, s21, v46
	v_mul_f16_sdwa v49, v24, s17 dst_sel:DWORD dst_unused:UNUSED_PAD src0_sel:WORD_1 src1_sel:DWORD
	v_add_f16_e32 v32, v32, v28
	v_fma_f16 v28, v26, s18, v49
	v_add_f16_e32 v33, v28, v29
	s_mov_b32 s24, 0xb836
	v_pk_add_f16 v28, v2, v7 neg_lo:[0,1] neg_hi:[0,1]
	v_pk_add_f16 v29, v7, v2
	v_mul_f16_sdwa v48, v28, s24 dst_sel:DWORD dst_unused:UNUSED_PAD src0_sel:WORD_1 src1_sel:DWORD
	s_movk_i32 s23, 0x3bf7
	v_fma_f16 v34, v29, s19, v48
	v_mul_f16_sdwa v60, v28, s23 dst_sel:DWORD dst_unused:UNUSED_PAD src0_sel:WORD_1 src1_sel:DWORD
	v_add_f16_e32 v34, v34, v32
	v_fma_f16 v32, v29, s15, v60
	v_add_f16_e32 v33, v32, v33
	s_movk_i32 s34, 0x3a62
	v_pk_add_f16 v32, v3, v6 neg_lo:[0,1] neg_hi:[0,1]
	s_mov_b32 s25, 0xb8d2
	v_pk_add_f16 v40, v6, v3
	v_mul_f16_sdwa v52, v32, s34 dst_sel:DWORD dst_unused:UNUSED_PAD src0_sel:WORD_1 src1_sel:DWORD
	s_mov_b32 s31, 0xb5c8
	v_fma_f16 v35, v40, s25, v52
	v_mul_f16_sdwa v65, v32, s31 dst_sel:DWORD dst_unused:UNUSED_PAD src0_sel:WORD_1 src1_sel:DWORD
	v_add_f16_e32 v34, v35, v34
	v_fma_f16 v35, v40, s10, v65
	v_add_f16_e32 v36, v35, v33
	v_pk_add_f16 v33, v4, v5 neg_lo:[0,1] neg_hi:[0,1]
	s_mov_b32 s26, 0xba62
	v_pk_add_f16 v43, v5, v4
	v_mul_f16_sdwa v66, v33, s20 dst_sel:DWORD dst_unused:UNUSED_PAD src0_sel:WORD_1 src1_sel:DWORD
	v_fma_f16 v35, v43, s14, v66
	v_mul_f16_sdwa v78, v33, s26 dst_sel:DWORD dst_unused:UNUSED_PAD src0_sel:WORD_1 src1_sel:DWORD
	v_add_f16_e32 v35, v35, v34
	v_fma_f16 v34, v43, s25, v78
	v_mul_f16_sdwa v51, v14, s31 dst_sel:DWORD dst_unused:UNUSED_PAD src0_sel:WORD_1 src1_sel:DWORD
	s_mov_b32 s35, 0xb964
	v_add_f16_e32 v34, v34, v36
	v_fma_f16 v36, v17, s10, v51
	v_mul_f16_sdwa v53, v19, s35 dst_sel:DWORD dst_unused:UNUSED_PAD src0_sel:WORD_1 src1_sel:DWORD
	v_add_f16_e32 v36, v36, v0
	v_fma_f16 v37, v42, s14, v53
	v_lshrrev_b32_e32 v126, 16, v17
	v_mul_f16_e32 v62, 0xb964, v14
	v_add_f16_e32 v36, v37, v36
	v_fma_f16 v37, v126, s14, -v62
	v_mul_f16_e32 v63, 0xbbf7, v19
	v_add_f16_sdwa v37, v37, v0 dst_sel:DWORD dst_unused:UNUSED_PAD src0_sel:DWORD src1_sel:WORD_1
	v_fma_f16 v38, v18, s15, -v63
	v_mul_f16_sdwa v68, v14, s30 dst_sel:DWORD dst_unused:UNUSED_PAD src0_sel:WORD_1 src1_sel:DWORD
	v_add_f16_e32 v37, v38, v37
	v_fma_f16 v38, v17, s21, v68
	v_mul_f16_sdwa v69, v19, s26 dst_sel:DWORD dst_unused:UNUSED_PAD src0_sel:WORD_1 src1_sel:DWORD
	v_add_f16_e32 v38, v38, v0
	v_fma_f16 v54, v42, s25, v69
	v_mul_f16_e32 v73, 0xbb29, v14
	v_add_f16_e32 v38, v54, v38
	v_fma_f16 v54, v126, s21, -v73
	v_mul_f16_e32 v74, 0xba62, v19
	v_add_f16_sdwa v54, v54, v0 dst_sel:DWORD dst_unused:UNUSED_PAD src0_sel:DWORD src1_sel:WORD_1
	v_fma_f16 v55, v18, s25, -v74
	v_mul_f16_e32 v83, 0xbbf7, v14
	v_add_f16_e32 v54, v55, v54
	v_fma_f16 v55, v126, s15, -v83
	v_mul_f16_e32 v85, 0xb1e1, v19
	v_add_f16_sdwa v55, v55, v0 dst_sel:DWORD dst_unused:UNUSED_PAD src0_sel:DWORD src1_sel:WORD_1
	v_fma_f16 v56, v18, s18, -v85
	;; [unrolled: 6-line block ×3, first 2 shown]
	v_mul_f16_sdwa v64, v20, s30 dst_sel:DWORD dst_unused:UNUSED_PAD src0_sel:WORD_1 src1_sel:DWORD
	v_add_f16_e32 v56, v57, v56
	v_fma_f16 v57, v21, s21, v64
	v_lshrrev_b32_e32 v128, 16, v21
	v_mul_f16_e32 v70, 0xba62, v20
	s_movk_i32 s36, 0x31e1
	v_add_f16_e32 v36, v57, v36
	v_fma_f16 v57, v128, s25, -v70
	v_mul_f16_sdwa v76, v20, s36 dst_sel:DWORD dst_unused:UNUSED_PAD src0_sel:WORD_1 src1_sel:DWORD
	v_add_f16_e32 v37, v57, v37
	v_fma_f16 v57, v21, s18, v76
	v_mul_f16_e32 v81, 0x31e1, v20
	v_add_f16_e32 v38, v57, v38
	v_fma_f16 v57, v128, s18, -v81
	v_mul_f16_e32 v91, 0x3bb2, v20
	v_add_f16_e32 v54, v57, v54
	v_fma_f16 v57, v128, s16, -v91
	v_mul_f16_e32 v106, 0x3964, v20
	v_add_f16_e32 v55, v57, v55
	v_fma_f16 v57, v128, s14, -v106
	v_mul_f16_sdwa v67, v22, s27 dst_sel:DWORD dst_unused:UNUSED_PAD src0_sel:WORD_1 src1_sel:DWORD
	v_add_f16_e32 v56, v57, v56
	v_fma_f16 v57, v23, s15, v67
	v_lshrrev_b32_e32 v129, 16, v23
	v_mul_f16_e32 v75, 0xb1e1, v22
	v_add_f16_e32 v36, v57, v36
	v_fma_f16 v57, v129, s18, -v75
	v_mul_f16_sdwa v80, v22, s28 dst_sel:DWORD dst_unused:UNUSED_PAD src0_sel:WORD_1 src1_sel:DWORD
	v_add_f16_e32 v37, v57, v37
	v_fma_f16 v57, v23, s16, v80
	v_mul_f16_e32 v87, 0x3bb2, v22
	v_add_f16_e32 v38, v57, v38
	v_fma_f16 v57, v129, s16, -v87
	v_mul_f16_e32 v96, 0x35c8, v22
	v_add_f16_e32 v54, v57, v54
	v_fma_f16 v57, v129, s10, -v96
	v_mul_f16_e32 v110, 0xbb29, v22
	v_add_f16_e32 v55, v57, v55
	v_fma_f16 v57, v129, s21, -v110
	v_mul_f16_sdwa v72, v24, s11 dst_sel:DWORD dst_unused:UNUSED_PAD src0_sel:WORD_1 src1_sel:DWORD
	v_add_f16_e32 v56, v57, v56
	v_fma_f16 v57, v26, s16, v72
	v_lshrrev_b32_e32 v131, 16, v26
	v_mul_f16_e32 v79, 0x3836, v24
	;; [unrolled: 19-line block ×4, first 2 shown]
	v_add_f16_e32 v61, v57, v36
	v_fma_f16 v36, v133, s21, -v88
	v_mul_f16_sdwa v92, v32, s27 dst_sel:DWORD dst_unused:UNUSED_PAD src0_sel:WORD_1 src1_sel:DWORD
	v_mul_f16_e32 v103, 0xbbf7, v32
	v_add_f16_e32 v57, v36, v37
	v_fma_f16 v36, v40, s15, v92
	v_fma_f16 v37, v133, s15, -v103
	v_mul_f16_e32 v121, 0x3a62, v32
	v_add_f16_e32 v36, v36, v38
	v_add_f16_e32 v38, v37, v54
	v_fma_f16 v37, v133, s25, -v121
	v_mul_f16_e32 v125, 0xb5c8, v32
	v_add_f16_e32 v54, v37, v55
	v_fma_f16 v37, v133, s10, -v125
	v_mul_f16_sdwa v119, v33, s24 dst_sel:DWORD dst_unused:UNUSED_PAD src0_sel:WORD_1 src1_sel:DWORD
	v_add_f16_e32 v55, v37, v56
	v_fma_f16 v56, v43, s19, v119
	v_lshrrev_b32_e32 v134, 16, v43
	v_mul_f16_e32 v111, 0x35c8, v33
	v_add_f16_e32 v36, v56, v36
	v_fma_f16 v56, v134, s10, -v111
	v_mul_f16_e32 v124, 0xb836, v33
	s_mov_b32 s37, 0xbbf7b964
	v_add_f16_e32 v56, v56, v57
	v_fma_f16 v57, v134, s19, -v124
	v_mul_f16_e32 v127, 0x3964, v33
	s_mov_b32 s4, 0x3b7639e9
	s_mov_b32 s33, 0x2de839e9
	v_pk_mul_f16 v108, v19, s37
	v_add_f16_e32 v57, v57, v38
	v_fma_f16 v38, v134, s14, -v127
	v_mul_f16_e32 v130, 0xba62, v33
	s_mov_b32 s5, 0xb964b5c8
	v_pk_mul_f16 v71, v17, s4
	v_pk_fma_f16 v98, v18, s33, v108
	v_add_f16_e32 v54, v38, v54
	v_fma_f16 v38, v134, s25, -v130
	v_pk_fma_f16 v113, v18, s33, v108 neg_lo:[0,0,1] neg_hi:[0,0,1]
	v_mul_f16_sdwa v108, v33, s17 dst_sel:DWORD dst_unused:UNUSED_PAD src0_sel:WORD_1 src1_sel:DWORD
	s_mov_b32 s38, 0x3722b8d2
	v_pk_fma_f16 v97, v14, s5, v71 op_sel:[0,0,1] op_sel_hi:[1,1,0]
	v_add_f16_e32 v55, v38, v55
	v_pk_fma_f16 v112, v14, s5, v71 op_sel:[0,0,1] op_sel_hi:[1,1,0] neg_lo:[1,0,0] neg_hi:[1,0,0]
	v_fma_f16 v38, v43, s18, v108
	s_mov_b32 s39, 0xba62bb29
	s_mov_b32 s40, 0x2de8bbdd
	v_add_f16_sdwa v37, v97, v0 dst_sel:DWORD dst_unused:UNUSED_PAD src0_sel:WORD_1 src1_sel:DWORD
	v_pk_mul_f16 v114, v21, s38
	v_add_f16_e32 v38, v38, v61
	v_add_f16_sdwa v61, v112, v0 dst_sel:DWORD dst_unused:UNUSED_PAD src0_sel:DWORD src1_sel:WORD_1
	s_mov_b32 s41, 0xb1e1bbf7
	s_mov_b32 s42, 0xb461bacd
	v_add_f16_sdwa v37, v98, v37 dst_sel:DWORD dst_unused:UNUSED_PAD src0_sel:WORD_1 src1_sel:DWORD
	v_pk_fma_f16 v99, v20, s39, v114 op_sel:[0,0,1] op_sel_hi:[1,1,0]
	v_pk_mul_f16 v115, v23, s40
	v_pk_fma_f16 v114, v20, s39, v114 op_sel:[0,0,1] op_sel_hi:[1,1,0] neg_lo:[1,0,0] neg_hi:[1,0,0]
	v_add_f16_e32 v61, v113, v61
	s_mov_b32 s43, 0x3836bbb2
	s_mov_b32 s44, 0xb8d2b461
	v_add_f16_sdwa v37, v99, v37 dst_sel:DWORD dst_unused:UNUSED_PAD src0_sel:WORD_1 src1_sel:DWORD
	v_pk_fma_f16 v100, v22, s41, v115 op_sel:[0,0,1] op_sel_hi:[1,1,0]
	v_pk_mul_f16 v116, v26, s42
	v_pk_fma_f16 v115, v22, s41, v115 op_sel:[0,0,1] op_sel_hi:[1,1,0] neg_lo:[1,0,0] neg_hi:[1,0,0]
	v_add_f16_e32 v61, v114, v61
	;; [unrolled: 7-line block ×4, first 2 shown]
	s_mov_b32 s49, 0x35c8b1e1
	v_add_f16_sdwa v37, v102, v37 dst_sel:DWORD dst_unused:UNUSED_PAD src0_sel:WORD_1 src1_sel:DWORD
	v_pk_fma_f16 v105, v32, s47, v118 op_sel:[0,0,1] op_sel_hi:[1,1,0]
	v_pk_mul_f16 v120, v43, s48
	v_pk_fma_f16 v118, v32, s47, v118 op_sel:[0,0,1] op_sel_hi:[1,1,0] neg_lo:[1,0,0] neg_hi:[1,0,0]
	v_add_f16_e32 v61, v117, v61
	v_add_f16_sdwa v37, v105, v37 dst_sel:DWORD dst_unused:UNUSED_PAD src0_sel:WORD_1 src1_sel:DWORD
	v_pk_fma_f16 v107, v33, s49, v120 op_sel:[0,0,1] op_sel_hi:[1,1,0]
	v_pk_fma_f16 v120, v33, s49, v120 op_sel:[0,0,1] op_sel_hi:[1,1,0] neg_lo:[1,0,0] neg_hi:[1,0,0]
	v_add_f16_e32 v61, v118, v61
	v_add_f16_sdwa v37, v107, v37 dst_sel:DWORD dst_unused:UNUSED_PAD src0_sel:WORD_1 src1_sel:DWORD
	s_movk_i32 s33, 0x3b29
	v_add_f16_e32 v71, v120, v61
	v_mul_lo_u16_e32 v25, 17, v231
	s_barrier
	s_and_saveexec_b64 s[4:5], s[0:1]
	s_cbranch_execz .LBB0_7
; %bb.6:
	v_mul_f16_e32 v200, 0xb8d2, v126
	v_fma_f16 v201, v14, s34, v200
	v_mul_f16_e32 v202, 0xb461, v18
	v_add_f16_sdwa v201, v201, v0 dst_sel:DWORD dst_unused:UNUSED_PAD src0_sel:DWORD src1_sel:WORD_1
	v_fma_f16 v203, v19, s11, v202
	v_add_f16_e32 v201, v203, v201
	v_mul_f16_e32 v203, 0x3b76, v128
	v_fma_f16 v204, v20, s22, v203
	v_add_f16_e32 v201, v204, v201
	v_mul_f16_e32 v204, 0xbacd, v129
	;; [unrolled: 3-line block ×6, first 2 shown]
	v_fma_f16 v209, v33, s30, v208
	v_add_f16_e32 v201, v209, v201
	v_mul_f16_sdwa v209, v14, s26 dst_sel:DWORD dst_unused:UNUSED_PAD src0_sel:WORD_1 src1_sel:DWORD
	v_fma_f16 v210, v17, s25, v209
	v_mul_f16_sdwa v211, v19, s28 dst_sel:DWORD dst_unused:UNUSED_PAD src0_sel:WORD_1 src1_sel:DWORD
	v_add_f16_e32 v210, v210, v0
	v_fma_f16 v212, v42, s16, v211
	v_add_f16_e32 v210, v212, v210
	v_mul_f16_sdwa v212, v20, s31 dst_sel:DWORD dst_unused:UNUSED_PAD src0_sel:WORD_1 src1_sel:DWORD
	v_fma_f16 v213, v21, s10, v212
	v_add_f16_e32 v210, v213, v210
	v_mul_f16_sdwa v213, v22, s24 dst_sel:DWORD dst_unused:UNUSED_PAD src0_sel:WORD_1 src1_sel:DWORD
	;; [unrolled: 3-line block ×5, first 2 shown]
	v_fma_f16 v217, v40, s18, v216
	v_mul_f16_e32 v140, 0x2de8, v17
	v_add_f16_e32 v210, v217, v210
	v_mul_f16_sdwa v217, v33, s33 dst_sel:DWORD dst_unused:UNUSED_PAD src0_sel:WORD_1 src1_sel:DWORD
	v_mul_f16_e32 v137, 0x39e9, v126
	v_mul_f16_e32 v139, 0x3722, v126
	;; [unrolled: 1-line block ×5, first 2 shown]
	v_fma_f16 v218, v43, s21, v217
	v_mul_f16_e32 v126, 0xbacd, v126
	v_sub_f16_e32 v27, v140, v27
	v_mul_f16_e32 v156, 0xb461, v21
	v_add_f16_e32 v210, v218, v210
	v_fma_f16 v218, v14, s29, v126
	v_mul_f16_e32 v219, 0x3722, v18
	v_add_f16_e32 v27, v27, v0
	v_sub_f16_e32 v30, v148, v30
	v_mul_f16_e32 v153, 0xb8d2, v128
	v_mul_f16_e32 v155, 0xbbdd, v128
	;; [unrolled: 1-line block ×5, first 2 shown]
	v_add_f16_sdwa v218, v218, v0 dst_sel:DWORD dst_unused:UNUSED_PAD src0_sel:DWORD src1_sel:WORD_1
	v_fma_f16 v220, v19, s30, v219
	v_mul_f16_e32 v128, 0x2de8, v128
	v_add_f16_e32 v27, v30, v27
	v_sub_f16_e32 v30, v156, v39
	v_mul_f16_e32 v161, 0xbbdd, v129
	v_mul_f16_e32 v163, 0xb461, v129
	v_mul_f16_e32 v165, 0x3b76, v129
	v_mul_f16_e32 v167, 0x3722, v129
	v_mul_f16_e32 v172, 0x3722, v26
	v_add_f16_e32 v218, v220, v218
	v_fma_f16 v220, v20, s23, v128
	v_mul_f16_e32 v129, 0xb8d2, v129
	v_add_f16_e32 v27, v30, v27
	v_sub_f16_e32 v30, v164, v44
	v_mul_f16_e32 v169, 0xbacd, v131
	v_mul_f16_e32 v171, 0x39e9, v131
	v_mul_f16_e32 v173, 0x3722, v131
	v_mul_f16_e32 v175, 0xbbdd, v131
	v_mul_f16_e32 v180, 0xbacd, v29
	v_add_f16_e32 v218, v220, v218
	;; [unrolled: 10-line block ×4, first 2 shown]
	v_fma_f16 v220, v28, s36, v132
	v_mul_f16_e32 v133, 0x39e9, v133
	v_add_f16_e32 v27, v30, v27
	v_sub_f16_e32 v30, v188, v52
	v_mul_f16_e32 v193, 0x3b76, v134
	v_mul_f16_e32 v195, 0xbacd, v134
	;; [unrolled: 1-line block ×4, first 2 shown]
	v_add_f16_e32 v218, v220, v218
	v_fma_f16 v220, v32, s35, v133
	v_mul_f16_e32 v134, 0xb461, v134
	v_add_f16_e32 v27, v30, v27
	v_sub_f16_e32 v30, v196, v66
	v_mul_f16_e32 v142, 0xb461, v17
	v_mul_f16_e32 v147, 0xb8d2, v18
	v_add_f16_e32 v218, v220, v218
	v_fma_f16 v220, v33, s28, v134
	v_fma_f16 v126, v14, s24, v126
	v_add_f16_e32 v27, v30, v27
	v_add_f16_e32 v30, v73, v139
	v_mul_f16_e32 v150, 0xbacd, v42
	v_add_f16_e32 v218, v220, v218
	v_mul_f16_sdwa v220, v14, s24 dst_sel:DWORD dst_unused:UNUSED_PAD src0_sel:WORD_1 src1_sel:DWORD
	v_add_f16_sdwa v126, v126, v0 dst_sel:DWORD dst_unused:UNUSED_PAD src0_sel:DWORD src1_sel:WORD_1
	v_fma_f16 v219, v19, s33, v219
	v_sub_f16_e32 v31, v142, v31
	v_add_f16_sdwa v30, v30, v0 dst_sel:DWORD dst_unused:UNUSED_PAD src0_sel:DWORD src1_sel:WORD_1
	v_add_f16_e32 v39, v74, v147
	v_mul_f16_e32 v158, 0x39e9, v21
	v_fma_f16 v221, v17, s19, v220
	v_mul_f16_sdwa v222, v19, s33 dst_sel:DWORD dst_unused:UNUSED_PAD src0_sel:WORD_1 src1_sel:DWORD
	v_add_f16_e32 v126, v219, v126
	v_fma_f16 v128, v20, s27, v128
	v_add_f16_e32 v31, v31, v0
	v_sub_f16_e32 v41, v150, v41
	v_add_f16_e32 v30, v39, v30
	v_add_f16_e32 v39, v81, v155
	v_mul_f16_e32 v166, 0x3722, v23
	v_add_f16_e32 v221, v221, v0
	v_fma_f16 v223, v42, s21, v222
	v_add_f16_e32 v126, v128, v126
	v_fma_f16 v128, v22, s34, v129
	v_add_f16_e32 v31, v41, v31
	v_sub_f16_e32 v41, v158, v45
	v_add_f16_e32 v30, v39, v30
	v_add_f16_e32 v39, v87, v163
	v_mul_f16_e32 v174, 0xbbdd, v26
	v_add_f16_e32 v221, v223, v221
	v_mul_f16_sdwa v223, v20, s27 dst_sel:DWORD dst_unused:UNUSED_PAD src0_sel:WORD_1 src1_sel:DWORD
	v_add_f16_e32 v126, v128, v126
	v_fma_f16 v128, v24, s31, v131
	v_add_f16_e32 v31, v41, v31
	v_sub_f16_e32 v41, v166, v47
	v_add_f16_e32 v30, v39, v30
	v_add_f16_e32 v39, v90, v171
	v_mul_f16_e32 v182, 0x2de8, v29
	v_fma_f16 v224, v21, s15, v223
	v_add_f16_e32 v126, v128, v126
	v_fma_f16 v128, v28, s17, v132
	v_add_f16_e32 v31, v41, v31
	v_sub_f16_e32 v41, v174, v49
	v_add_f16_e32 v30, v39, v30
	v_add_f16_e32 v39, v94, v179
	v_mul_f16_e32 v190, 0x3b76, v40
	v_add_f16_e32 v221, v224, v221
	v_mul_f16_sdwa v224, v22, s34 dst_sel:DWORD dst_unused:UNUSED_PAD src0_sel:WORD_1 src1_sel:DWORD
	v_add_f16_e32 v126, v128, v126
	v_fma_f16 v128, v32, s20, v133
	v_add_f16_e32 v31, v41, v31
	v_sub_f16_e32 v41, v182, v60
	v_add_f16_e32 v30, v39, v30
	v_add_f16_e32 v39, v103, v187
	v_mul_f16_e32 v138, 0x3722, v17
	v_mul_f16_e32 v198, 0xb8d2, v43
	v_fma_f16 v225, v23, s25, v224
	v_add_f16_e32 v126, v128, v126
	v_fma_f16 v128, v33, s11, v134
	v_add_f16_e32 v31, v41, v31
	v_sub_f16_e32 v41, v190, v65
	v_add_f16_e32 v30, v39, v30
	v_add_f16_e32 v39, v124, v195
	v_mul_f16_e32 v146, 0xb8d2, v42
	v_add_f16_e32 v221, v225, v221
	v_mul_f16_sdwa v225, v24, s31 dst_sel:DWORD dst_unused:UNUSED_PAD src0_sel:WORD_1 src1_sel:DWORD
	v_add_f16_e32 v126, v128, v126
	v_fma_f16 v128, v17, s19, -v220
	v_add_f16_e32 v31, v41, v31
	v_sub_f16_e32 v41, v198, v78
	v_add_f16_e32 v30, v39, v30
	v_sub_f16_e32 v39, v138, v68
	v_mul_f16_e32 v149, 0xbbdd, v18
	v_mul_f16_e32 v154, 0xbbdd, v21
	v_fma_f16 v226, v26, s10, v225
	v_add_f16_e32 v128, v128, v0
	v_fma_f16 v129, v42, s21, -v222
	v_add_f16_e32 v31, v41, v31
	v_add_f16_e32 v41, v83, v141
	v_add_f16_e32 v39, v39, v0
	v_sub_f16_e32 v44, v146, v69
	v_mul_f16_e32 v162, 0xb461, v23
	v_add_f16_e32 v221, v226, v221
	v_mul_f16_sdwa v226, v28, s17 dst_sel:DWORD dst_unused:UNUSED_PAD src0_sel:WORD_1 src1_sel:DWORD
	v_add_f16_e32 v128, v129, v128
	v_fma_f16 v129, v21, s15, -v223
	v_add_f16_sdwa v41, v41, v0 dst_sel:DWORD dst_unused:UNUSED_PAD src0_sel:DWORD src1_sel:WORD_1
	v_add_f16_e32 v45, v85, v149
	v_add_f16_e32 v39, v44, v39
	v_sub_f16_e32 v44, v154, v76
	v_mul_f16_e32 v170, 0x39e9, v26
	v_fma_f16 v227, v29, s18, v226
	v_add_f16_e32 v128, v129, v128
	v_fma_f16 v129, v23, s25, -v224
	v_add_f16_e32 v41, v45, v41
	v_add_f16_e32 v45, v91, v157
	;; [unrolled: 1-line block ×3, first 2 shown]
	v_sub_f16_e32 v44, v162, v80
	v_mul_f16_e32 v178, 0x3b76, v29
	v_add_f16_e32 v221, v227, v221
	v_mul_f16_sdwa v227, v32, s20 dst_sel:DWORD dst_unused:UNUSED_PAD src0_sel:WORD_1 src1_sel:DWORD
	v_add_f16_e32 v128, v129, v128
	v_fma_f16 v129, v26, s10, -v225
	v_add_f16_e32 v41, v45, v41
	v_add_f16_e32 v45, v96, v165
	;; [unrolled: 1-line block ×3, first 2 shown]
	v_sub_f16_e32 v44, v170, v86
	v_mul_f16_e32 v186, 0x2de8, v40
	v_fma_f16 v228, v40, s14, v227
	v_add_f16_e32 v128, v129, v128
	v_fma_f16 v129, v29, s18, -v226
	v_add_f16_e32 v41, v45, v41
	v_add_f16_e32 v45, v104, v173
	;; [unrolled: 1-line block ×3, first 2 shown]
	v_sub_f16_e32 v44, v178, v89
	v_mul_f16_e32 v194, 0xbacd, v43
	v_add_f16_e32 v221, v228, v221
	v_mul_f16_sdwa v228, v33, s11 dst_sel:DWORD dst_unused:UNUSED_PAD src0_sel:WORD_1 src1_sel:DWORD
	v_add_f16_e32 v128, v129, v128
	v_fma_f16 v129, v40, s14, -v227
	v_add_f16_e32 v41, v45, v41
	v_add_f16_e32 v45, v109, v181
	;; [unrolled: 1-line block ×3, first 2 shown]
	v_sub_f16_e32 v44, v186, v92
	v_add_f16_e32 v128, v129, v128
	v_fma_f16 v129, v43, s16, -v228
	v_add_f16_e32 v41, v45, v41
	v_add_f16_e32 v45, v121, v189
	;; [unrolled: 1-line block ×3, first 2 shown]
	v_sub_f16_e32 v44, v194, v119
	v_mul_f16_e32 v145, 0x2de8, v18
	v_add_f16_e32 v128, v129, v128
	v_fma_f16 v129, v14, s26, v200
	v_add_f16_e32 v41, v45, v41
	v_add_f16_e32 v45, v127, v197
	;; [unrolled: 1-line block ×4, first 2 shown]
	v_add_f16_sdwa v129, v129, v0 dst_sel:DWORD dst_unused:UNUSED_PAD src0_sel:DWORD src1_sel:WORD_1
	v_fma_f16 v131, v19, s28, v202
	v_add_f16_e32 v41, v45, v41
	v_add_f16_sdwa v44, v44, v0 dst_sel:DWORD dst_unused:UNUSED_PAD src0_sel:DWORD src1_sel:WORD_1
	v_add_f16_e32 v45, v63, v145
	v_add_f16_e32 v129, v131, v129
	v_fma_f16 v131, v20, s31, v203
	v_add_f16_e32 v44, v45, v44
	v_add_f16_e32 v45, v70, v153
	v_alignbit_b32 v135, v0, v0, 16
	v_add_f16_e32 v129, v131, v129
	v_fma_f16 v131, v22, s24, v204
	v_add_f16_e32 v44, v45, v44
	v_add_f16_e32 v45, v75, v161
	v_alignbit_b32 v50, v50, v50, 16
	v_add_f16_e32 v129, v131, v129
	v_fma_f16 v131, v24, s23, v205
	v_add_f16_e32 v44, v45, v44
	v_add_f16_e32 v45, v79, v169
	v_pk_add_f16 v1, v1, v135 op_sel:[0,1] op_sel_hi:[1,0]
	v_add_f16_e32 v129, v131, v129
	v_fma_f16 v131, v28, s35, v206
	v_add_f16_e32 v44, v45, v44
	v_add_f16_e32 v45, v84, v177
	v_pk_add_f16 v1, v50, v1
	v_add_f16_e32 v129, v131, v129
	v_fma_f16 v131, v32, s17, v207
	v_add_f16_e32 v44, v45, v44
	v_add_f16_e32 v45, v88, v185
	v_pk_add_f16 v1, v15, v1
	v_mul_f16_e32 v136, 0x3b76, v17
	v_add_f16_e32 v129, v131, v129
	v_fma_f16 v131, v33, s33, v208
	v_add_f16_e32 v44, v45, v44
	v_add_f16_e32 v45, v111, v193
	s_mov_b32 s27, 0xffff
	v_pk_add_f16 v1, v12, v1
	v_mul_f16_e32 v144, 0x39e9, v42
	v_add_f16_e32 v129, v131, v129
	v_fma_f16 v131, v17, s25, -v209
	v_add_f16_e32 v93, v93, v143
	v_add_f16_e32 v44, v45, v44
	v_bfi_b32 v45, s27, v97, v112
	v_sub_f16_e32 v51, v136, v51
	v_pk_add_f16 v1, v13, v1
	v_mul_f16_e32 v152, 0x3722, v21
	v_add_f16_e32 v131, v131, v0
	v_add_f16_sdwa v93, v93, v0 dst_sel:DWORD dst_unused:UNUSED_PAD src0_sel:DWORD src1_sel:WORD_1
	v_bfi_b32 v46, s27, v98, v113
	v_add_f16_e32 v0, v51, v0
	v_sub_f16_e32 v51, v144, v53
	v_pk_add_f16 v1, v2, v1
	v_pk_add_f16 v2, v45, v135
	v_mul_f16_e32 v151, 0xbacd, v18
	v_mul_f16_e32 v160, 0x2de8, v23
	v_bfi_b32 v47, s27, v99, v114
	v_add_f16_e32 v0, v51, v0
	v_sub_f16_e32 v51, v152, v64
	v_pk_add_f16 v2, v46, v2
	v_mul_f16_e32 v168, 0xb461, v26
	v_fma_f16 v42, v42, s16, -v211
	v_add_f16_e32 v95, v95, v151
	v_bfi_b32 v48, s27, v100, v115
	v_add_f16_e32 v0, v51, v0
	v_sub_f16_e32 v51, v160, v67
	v_pk_add_f16 v1, v3, v1
	v_pk_add_f16 v2, v47, v2
	v_mul_f16_e32 v176, 0xb8d2, v29
	v_add_f16_e32 v42, v42, v131
	v_fma_f16 v131, v21, s10, -v212
	v_add_f16_e32 v93, v95, v93
	v_add_f16_e32 v95, v106, v159
	v_bfi_b32 v49, s27, v101, v116
	v_add_f16_e32 v0, v51, v0
	v_sub_f16_e32 v51, v168, v72
	v_pk_add_f16 v1, v4, v1
	v_pk_add_f16 v2, v48, v2
	v_mul_f16_e32 v184, 0xbacd, v40
	v_add_f16_e32 v42, v131, v42
	v_fma_f16 v131, v23, s19, -v213
	v_add_f16_e32 v93, v95, v93
	;; [unrolled: 10-line block ×3, first 2 shown]
	v_add_f16_e32 v95, v122, v175
	v_bfi_b32 v60, s27, v105, v118
	v_add_f16_e32 v0, v51, v0
	v_sub_f16_e32 v51, v184, v82
	v_pk_add_f16 v1, v6, v1
	v_pk_add_f16 v2, v52, v2
	v_add_f16_e32 v42, v131, v42
	v_fma_f16 v131, v29, s14, -v215
	v_add_f16_e32 v93, v95, v93
	v_add_f16_e32 v95, v123, v183
	v_bfi_b32 v62, s27, v107, v120
	v_add_f16_e32 v0, v51, v0
	v_sub_f16_e32 v51, v192, v108
	v_pk_add_f16 v1, v7, v1
	v_pk_add_f16 v2, v60, v2
	v_add_f16_e32 v42, v131, v42
	v_fma_f16 v131, v40, s18, -v216
	v_add_f16_e32 v93, v95, v93
	v_add_f16_e32 v95, v125, v191
	;; [unrolled: 1-line block ×3, first 2 shown]
	v_pk_add_f16 v1, v8, v1
	v_pk_add_f16 v2, v62, v2
	v_add_f16_e32 v42, v131, v42
	v_fma_f16 v131, v43, s21, -v217
	v_add_f16_e32 v93, v95, v93
	v_add_f16_e32 v95, v130, v199
	v_lshlrev_b32_e32 v12, 2, v25
	v_pk_add_f16 v1, v9, v1
	v_alignbit_b32 v3, v44, v2, 16
	v_pack_b32_f16 v0, v0, v2
	v_add_f16_e32 v42, v131, v42
	v_add_f16_e32 v93, v95, v93
	v_pk_add_f16 v1, v10, v1
	ds_write2_b32 v12, v0, v3 offset0:1 offset1:2
	v_pack_b32_f16 v0, v27, v41
	v_pack_b32_f16 v2, v39, v30
	v_pk_add_f16 v1, v11, v1
	ds_write2_b32 v12, v2, v0 offset0:3 offset1:4
	v_pack_b32_f16 v0, v31, v93
	v_pack_b32_f16 v2, v42, v129
	v_pk_add_f16 v1, v16, v1
	ds_write2_b32 v12, v0, v2 offset0:5 offset1:6
	v_pack_b32_f16 v0, v128, v126
	ds_write2_b32 v12, v1, v0 offset1:7
	v_pk_mul_f16 v0, v17, s18 op_sel_hi:[1,0]
	v_pk_fma_f16 v1, v14, s17, v0 op_sel:[0,0,1] op_sel_hi:[1,0,0] neg_lo:[1,0,0] neg_hi:[1,0,0]
	v_pk_mul_f16 v2, v19, s22 op_sel_hi:[1,0]
	v_pk_add_f16 v1, v1, v135
	v_pk_fma_f16 v3, v18, s10, v2 op_sel_hi:[1,0,1] neg_lo:[0,0,1] neg_hi:[0,0,1]
	v_pk_add_f16 v1, v3, v1
	v_pk_mul_f16 v3, v21, s19 op_sel_hi:[1,0]
	v_pk_fma_f16 v4, v20, s24, v3 op_sel:[0,0,1] op_sel_hi:[1,0,0] neg_lo:[1,0,0] neg_hi:[1,0,0]
	v_pk_add_f16 v1, v4, v1
	v_pk_mul_f16 v4, v23, s14 op_sel_hi:[1,0]
	v_pk_fma_f16 v5, v22, s20, v4 op_sel:[0,0,1] op_sel_hi:[1,0,0] neg_lo:[1,0,0] neg_hi:[1,0,0]
	v_pk_add_f16 v1, v5, v1
	v_pk_mul_f16 v5, v26, s25 op_sel_hi:[1,0]
	v_pk_fma_f16 v0, v14, s17, v0 op_sel:[0,0,1] op_sel_hi:[1,0,0]
	v_pk_fma_f16 v6, v24, s26, v5 op_sel:[0,0,1] op_sel_hi:[1,0,0] neg_lo:[1,0,0] neg_hi:[1,0,0]
	v_pk_add_f16 v0, v0, v135
	v_pk_fma_f16 v2, v18, s10, v2 op_sel_hi:[1,0,1]
	v_pk_add_f16 v1, v6, v1
	v_pk_mul_f16 v6, v29, s21 op_sel_hi:[1,0]
	v_pk_add_f16 v0, v2, v0
	v_pk_fma_f16 v2, v20, s24, v3 op_sel:[0,0,1] op_sel_hi:[1,0,0]
	v_pk_fma_f16 v7, v28, s33, v6 op_sel:[0,0,1] op_sel_hi:[1,0,0] neg_lo:[1,0,0] neg_hi:[1,0,0]
	v_pk_add_f16 v0, v2, v0
	v_pk_fma_f16 v2, v22, s20, v4 op_sel:[0,0,1] op_sel_hi:[1,0,0]
	v_pk_add_f16 v1, v7, v1
	v_pk_mul_f16 v7, v40, s16 op_sel_hi:[1,0]
	v_pk_add_f16 v0, v2, v0
	v_pk_fma_f16 v2, v24, s26, v5 op_sel:[0,0,1] op_sel_hi:[1,0,0]
	v_pk_fma_f16 v8, v32, s11, v7 op_sel:[0,0,1] op_sel_hi:[1,0,0] neg_lo:[1,0,0] neg_hi:[1,0,0]
	v_pk_add_f16 v0, v2, v0
	v_pk_fma_f16 v2, v28, s33, v6 op_sel:[0,0,1] op_sel_hi:[1,0,0]
	;; [unrolled: 7-line block ×3, first 2 shown]
	v_fma_f16 v229, v43, s16, v228
	v_pk_add_f16 v1, v9, v1
	v_pk_add_f16 v0, v2, v0
	v_add_f16_e32 v221, v229, v221
	v_alignbit_b32 v2, v1, v0, 16
	v_alignbit_b32 v0, v0, v1, 16
	ds_write2_b32 v12, v0, v2 offset0:8 offset1:9
	v_pack_b32_f16 v0, v210, v201
	v_pack_b32_f16 v1, v221, v218
	s_mov_b32 s10, 0x5040100
	ds_write2_b32 v12, v1, v0 offset0:10 offset1:11
	v_perm_b32 v0, v54, v35, s10
	v_perm_b32 v1, v55, v34, s10
	ds_write2_b32 v12, v1, v0 offset0:12 offset1:13
	v_perm_b32 v0, v56, v37, s10
	v_perm_b32 v1, v57, v36, s10
	ds_write2_b32 v12, v1, v0 offset0:14 offset1:15
	v_perm_b32 v0, v71, v38, s10
	ds_write_b32 v12, v0 offset:64
.LBB0_7:
	s_or_b64 exec, exec, s[4:5]
	s_movk_i32 s4, 0xf1
	v_mul_lo_u16_sdwa v0, v231, s4 dst_sel:DWORD dst_unused:UNUSED_PAD src0_sel:BYTE_0 src1_sel:DWORD
	v_lshrrev_b16_e32 v14, 12, v0
	v_mul_lo_u16_e32 v0, 17, v14
	v_sub_u16_e32 v0, v231, v0
	v_and_b32_e32 v15, 0xff, v0
	v_mad_u64_u32 v[1:2], s[4:5], v15, 12, s[2:3]
	s_movk_i32 s4, 0xaa
	v_add_co_u32_e32 v0, vcc, s4, v231
	s_mov_b32 s4, 0xf0f1
	v_mul_u32_u24_sdwa v28, v0, s4 dst_sel:DWORD dst_unused:UNUSED_PAD src0_sel:WORD_0 src1_sel:DWORD
	v_lshrrev_b32_e32 v26, 20, v28
	s_load_dwordx4 s[8:11], s[8:9], 0x0
	s_waitcnt lgkmcnt(0)
	s_barrier
	global_load_dwordx3 v[16:18], v[1:2], off
	v_mul_lo_u16_e32 v1, 17, v26
	v_sub_u16_e32 v27, v0, v1
	v_mul_lo_u16_e32 v1, 12, v27
	v_mov_b32_e32 v32, s3
	v_add_co_u32_e32 v1, vcc, s2, v1
	s_movk_i32 s5, 0x154
	v_addc_co_u32_e32 v2, vcc, 0, v32, vcc
	v_add_co_u32_e32 v30, vcc, s5, v231
	v_mul_u32_u24_sdwa v31, v30, s4 dst_sel:DWORD dst_unused:UNUSED_PAD src0_sel:WORD_0 src1_sel:DWORD
	v_lshrrev_b32_e32 v29, 20, v31
	global_load_dwordx3 v[19:21], v[1:2], off
	v_mul_lo_u16_e32 v1, 17, v29
	v_sub_u16_e32 v33, v30, v1
	v_mul_lo_u16_e32 v1, 12, v33
	v_add_co_u32_e32 v1, vcc, s2, v1
	v_addc_co_u32_e32 v2, vcc, 0, v32, vcc
	global_load_dwordx3 v[22:24], v[1:2], off
	v_mov_b32_e32 v1, 2
	v_lshlrev_b32_sdwa v60, v1, v231 dst_sel:DWORD dst_unused:UNUSED_PAD src0_sel:DWORD src1_sel:WORD_0
	v_add_u32_e32 v40, 0x400, v60
	ds_read2_b32 v[2:3], v60 offset1:170
	v_add_u32_e32 v1, 0xf00, v60
	v_add_u32_e32 v41, 0x1400, v60
	;; [unrolled: 1-line block ×4, first 2 shown]
	ds_read2_b32 v[4:5], v40 offset0:84 offset1:254
	ds_read2_b32 v[6:7], v1 offset0:60 offset1:230
	;; [unrolled: 1-line block ×5, first 2 shown]
	s_waitcnt lgkmcnt(4)
	v_lshrrev_b32_e32 v46, 16, v5
	s_waitcnt lgkmcnt(3)
	v_lshrrev_b32_e32 v47, 16, v6
	;; [unrolled: 2-line block ×4, first 2 shown]
	v_lshrrev_b32_e32 v44, 16, v2
	v_lshrrev_b32_e32 v49, 16, v10
	;; [unrolled: 1-line block ×3, first 2 shown]
	s_waitcnt lgkmcnt(0)
	v_lshrrev_b32_e32 v51, 16, v12
	v_lshrrev_b32_e32 v62, 16, v8
	;; [unrolled: 1-line block ×4, first 2 shown]
	v_mul_u32_u24_e32 v14, 0x44, v14
	v_add_lshl_u32 v212, v14, v15, 2
	v_lshrrev_b32_e32 v52, 16, v4
	s_waitcnt vmcnt(0)
	s_barrier
	s_movk_i32 s5, 0x44
	v_add_co_u32_e32 v39, vcc, 0x1fe, v231
	v_add_u32_e32 v92, 0x600, v60
	v_add_u32_e32 v93, 0xc00, v60
	v_add_u32_e32 v94, 0x1300, v60
	v_add_u32_e32 v95, 0x1900, v60
	v_mul_f16_sdwa v64, v46, v16 dst_sel:DWORD dst_unused:UNUSED_PAD src0_sel:DWORD src1_sel:WORD_1
	v_mul_f16_sdwa v65, v5, v16 dst_sel:DWORD dst_unused:UNUSED_PAD src0_sel:DWORD src1_sel:WORD_1
	;; [unrolled: 1-line block ×6, first 2 shown]
	v_fma_f16 v5, v5, v16, -v64
	v_fma_f16 v46, v46, v16, v65
	v_fma_f16 v6, v6, v17, -v66
	v_fma_f16 v47, v47, v17, v67
	v_fma_f16 v9, v9, v18, -v68
	v_fma_f16 v48, v48, v18, v69
	v_sub_f16_e32 v6, v2, v6
	v_sub_f16_e32 v47, v44, v47
	;; [unrolled: 1-line block ×4, first 2 shown]
	v_mul_f16_sdwa v70, v49, v19 dst_sel:DWORD dst_unused:UNUSED_PAD src0_sel:DWORD src1_sel:WORD_1
	v_mul_f16_sdwa v72, v10, v19 dst_sel:DWORD dst_unused:UNUSED_PAD src0_sel:DWORD src1_sel:WORD_1
	;; [unrolled: 1-line block ×7, first 2 shown]
	v_fma_f16 v64, v11, v22, -v64
	v_mul_f16_sdwa v11, v11, v22 dst_sel:DWORD dst_unused:UNUSED_PAD src0_sel:DWORD src1_sel:WORD_1
	v_fma_f16 v11, v53, v22, v11
	v_mul_f16_sdwa v53, v62, v23 dst_sel:DWORD dst_unused:UNUSED_PAD src0_sel:DWORD src1_sel:WORD_1
	v_fma_f16 v2, v2, 2.0, -v6
	v_fma_f16 v44, v44, 2.0, -v47
	;; [unrolled: 1-line block ×4, first 2 shown]
	v_fma_f16 v10, v10, v19, -v70
	v_fma_f16 v49, v49, v19, v72
	v_fma_f16 v7, v7, v20, -v73
	v_fma_f16 v50, v50, v20, v74
	;; [unrolled: 2-line block ×3, first 2 shown]
	v_fma_f16 v53, v8, v23, -v53
	v_mul_f16_sdwa v8, v8, v23 dst_sel:DWORD dst_unused:UNUSED_PAD src0_sel:DWORD src1_sel:WORD_1
	v_sub_f16_e32 v5, v2, v5
	v_sub_f16_e32 v46, v44, v46
	;; [unrolled: 1-line block ×3, first 2 shown]
	v_add_f16_e32 v9, v47, v9
	v_fma_f16 v8, v62, v23, v8
	v_mul_f16_sdwa v62, v63, v24 dst_sel:DWORD dst_unused:UNUSED_PAD src0_sel:DWORD src1_sel:WORD_1
	v_fma_f16 v2, v2, 2.0, -v5
	v_fma_f16 v44, v44, 2.0, -v46
	;; [unrolled: 1-line block ×4, first 2 shown]
	v_sub_f16_e32 v7, v3, v7
	v_sub_f16_e32 v50, v45, v50
	;; [unrolled: 1-line block ×4, first 2 shown]
	v_fma_f16 v62, v13, v24, -v62
	v_mul_f16_sdwa v13, v13, v24 dst_sel:DWORD dst_unused:UNUSED_PAD src0_sel:DWORD src1_sel:WORD_1
	v_fma_f16 v3, v3, 2.0, -v7
	v_fma_f16 v45, v45, 2.0, -v50
	v_fma_f16 v10, v10, 2.0, -v12
	v_fma_f16 v49, v49, 2.0, -v51
	v_pack_b32_f16 v2, v2, v44
	v_pack_b32_f16 v6, v6, v47
	v_fma_f16 v13, v63, v24, v13
	v_sub_f16_e32 v10, v3, v10
	v_sub_f16_e32 v49, v45, v49
	;; [unrolled: 1-line block ×3, first 2 shown]
	v_add_f16_e32 v12, v50, v12
	ds_write2_b32 v212, v2, v6 offset1:17
	v_pack_b32_f16 v2, v5, v46
	v_pack_b32_f16 v5, v48, v9
	v_fma_f16 v3, v3, 2.0, -v10
	v_fma_f16 v45, v45, 2.0, -v49
	;; [unrolled: 1-line block ×4, first 2 shown]
	v_sub_f16_e32 v53, v4, v53
	v_sub_f16_e32 v8, v52, v8
	;; [unrolled: 1-line block ×4, first 2 shown]
	ds_write2_b32 v212, v2, v5 offset0:34 offset1:51
	v_mad_legacy_u16 v2, v26, s5, v27
	v_fma_f16 v4, v4, 2.0, -v53
	v_fma_f16 v52, v52, 2.0, -v8
	;; [unrolled: 1-line block ×4, first 2 shown]
	v_lshlrev_b32_e32 v235, 2, v2
	v_pack_b32_f16 v2, v3, v45
	v_pack_b32_f16 v3, v7, v50
	v_sub_f16_e32 v66, v4, v63
	v_sub_f16_e32 v11, v52, v11
	;; [unrolled: 1-line block ×3, first 2 shown]
	v_add_f16_e32 v62, v8, v62
	ds_write2_b32 v235, v2, v3 offset1:17
	v_pack_b32_f16 v2, v10, v49
	v_pack_b32_f16 v3, v51, v12
	v_fma_f16 v4, v4, 2.0, -v66
	v_fma_f16 v52, v52, 2.0, -v11
	;; [unrolled: 1-line block ×4, first 2 shown]
	ds_write2_b32 v235, v2, v3 offset0:34 offset1:51
	v_mad_legacy_u16 v2, v29, s5, v33
	v_lshlrev_b32_e32 v245, 2, v2
	v_pack_b32_f16 v2, v4, v52
	v_pack_b32_f16 v3, v53, v8
	ds_write2_b32 v245, v2, v3 offset1:17
	v_pack_b32_f16 v2, v66, v11
	v_pack_b32_f16 v3, v13, v62
	s_movk_i32 s5, 0x79
	ds_write2_b32 v245, v2, v3 offset0:34 offset1:51
	v_mul_lo_u16_sdwa v2, v231, s5 dst_sel:DWORD dst_unused:UNUSED_PAD src0_sel:BYTE_0 src1_sel:DWORD
	v_lshrrev_b16_e32 v14, 13, v2
	v_mul_lo_u16_e32 v2, 0x44, v14
	v_sub_u16_e32 v2, v231, v2
	v_and_b32_e32 v15, 0xff, v2
	v_lshlrev_b32_e32 v2, 3, v15
	v_lshrrev_b32_e32 v44, 22, v28
	s_waitcnt lgkmcnt(0)
	s_barrier
	global_load_dwordx2 v[26:27], v2, s[2:3] offset:204
	v_mul_lo_u16_e32 v2, 0x44, v44
	v_sub_u16_e32 v45, v0, v2
	v_lshlrev_b16_e32 v2, 3, v45
	v_add_co_u32_e32 v2, vcc, s2, v2
	v_addc_co_u32_e32 v3, vcc, 0, v32, vcc
	v_lshrrev_b32_e32 v46, 22, v31
	global_load_dwordx2 v[28:29], v[2:3], off offset:204
	v_mul_lo_u16_e32 v2, 0x44, v46
	v_sub_u16_e32 v47, v30, v2
	v_lshlrev_b16_e32 v2, 3, v47
	v_add_co_u32_e32 v2, vcc, s2, v2
	v_addc_co_u32_e32 v3, vcc, 0, v32, vcc
	global_load_dwordx2 v[30:31], v[2:3], off offset:204
	v_mul_u32_u24_sdwa v2, v39, s4 dst_sel:DWORD dst_unused:UNUSED_PAD src0_sel:WORD_0 src1_sel:DWORD
	v_lshrrev_b32_e32 v50, 22, v2
	v_mul_lo_u16_e32 v2, 0x44, v50
	v_sub_u16_e32 v39, v39, v2
	v_lshlrev_b16_e32 v2, 3, v39
	v_add_co_u32_e32 v2, vcc, s2, v2
	v_addc_co_u32_e32 v3, vcc, 0, v32, vcc
	global_load_dwordx2 v[32:33], v[2:3], off offset:204
	ds_read2_b32 v[2:3], v60 offset1:170
	ds_read2_b32 v[4:5], v42 offset0:40 offset1:210
	ds_read2_b32 v[6:7], v41 offset0:80 offset1:250
	;; [unrolled: 1-line block ×5, first 2 shown]
	s_movk_i32 s4, 0x3aee
	s_waitcnt lgkmcnt(5)
	v_lshrrev_b32_e32 v41, 16, v2
	s_waitcnt lgkmcnt(4)
	v_lshrrev_b32_e32 v42, 16, v4
	s_waitcnt lgkmcnt(3)
	v_lshrrev_b32_e32 v48, 16, v6
	v_lshrrev_b32_e32 v40, 16, v5
	v_lshrrev_b32_e32 v43, 16, v7
	s_waitcnt lgkmcnt(1)
	v_lshrrev_b32_e32 v52, 16, v10
	s_waitcnt lgkmcnt(0)
	v_lshrrev_b32_e32 v53, 16, v12
	v_lshrrev_b32_e32 v66, 16, v11
	;; [unrolled: 1-line block ×3, first 2 shown]
	s_mov_b32 s5, 0xbaee
	v_lshrrev_b32_e32 v49, 16, v3
	v_lshrrev_b32_e32 v51, 16, v8
	;; [unrolled: 1-line block ×3, first 2 shown]
	s_waitcnt vmcnt(0)
	s_barrier
	v_cmp_gt_u16_e32 vcc, 34, v231
                                        ; implicit-def: $vgpr76
	v_mul_f16_sdwa v68, v42, v26 dst_sel:DWORD dst_unused:UNUSED_PAD src0_sel:DWORD src1_sel:WORD_1
	v_fma_f16 v68, v4, v26, -v68
	v_mul_f16_sdwa v4, v4, v26 dst_sel:DWORD dst_unused:UNUSED_PAD src0_sel:DWORD src1_sel:WORD_1
	v_fma_f16 v4, v42, v26, v4
	v_mul_f16_sdwa v42, v48, v27 dst_sel:DWORD dst_unused:UNUSED_PAD src0_sel:DWORD src1_sel:WORD_1
	v_fma_f16 v42, v6, v27, -v42
	v_mul_f16_sdwa v6, v6, v27 dst_sel:DWORD dst_unused:UNUSED_PAD src0_sel:DWORD src1_sel:WORD_1
	v_fma_f16 v6, v48, v27, v6
	v_add_f16_e32 v69, v68, v42
	v_mul_f16_sdwa v48, v40, v28 dst_sel:DWORD dst_unused:UNUSED_PAD src0_sel:DWORD src1_sel:WORD_1
	v_fma_f16 v48, v5, v28, -v48
	v_mul_f16_sdwa v5, v5, v28 dst_sel:DWORD dst_unused:UNUSED_PAD src0_sel:DWORD src1_sel:WORD_1
	v_fma_f16 v5, v40, v28, v5
	v_mul_f16_sdwa v40, v43, v29 dst_sel:DWORD dst_unused:UNUSED_PAD src0_sel:DWORD src1_sel:WORD_1
	v_fma_f16 v40, v7, v29, -v40
	v_mul_f16_sdwa v7, v7, v29 dst_sel:DWORD dst_unused:UNUSED_PAD src0_sel:DWORD src1_sel:WORD_1
	v_fma_f16 v7, v43, v29, v7
	;; [unrolled: 4-line block ×6, first 2 shown]
	v_add_f16_e32 v67, v2, v68
	v_fma_f16 v2, v69, -0.5, v2
	v_sub_f16_e32 v69, v4, v6
	v_fma_f16 v70, v69, s4, v2
	v_fma_f16 v2, v69, s5, v2
	v_add_f16_e32 v69, v41, v4
	v_add_f16_e32 v4, v4, v6
	v_add_f16_e32 v67, v67, v42
	v_add_f16_e32 v69, v69, v6
	v_fma_f16 v4, v4, -0.5, v41
	v_sub_f16_e32 v6, v68, v42
	v_add_f16_e32 v42, v48, v40
	v_fma_f16 v41, v6, s5, v4
	v_fma_f16 v4, v6, s4, v4
	v_add_f16_e32 v6, v3, v48
	v_fma_f16 v3, v42, -0.5, v3
	v_sub_f16_e32 v42, v5, v7
	v_fma_f16 v68, v42, s4, v3
	v_fma_f16 v3, v42, s5, v3
	v_add_f16_e32 v42, v49, v5
	v_add_f16_e32 v5, v5, v7
	;; [unrolled: 1-line block ×3, first 2 shown]
	v_fma_f16 v5, v5, -0.5, v49
	v_sub_f16_e32 v7, v48, v40
	v_add_f16_e32 v48, v43, v52
	v_add_f16_e32 v6, v6, v40
	v_fma_f16 v40, v7, s5, v5
	v_fma_f16 v5, v7, s4, v5
	v_add_f16_e32 v7, v8, v43
	v_fma_f16 v8, v48, -0.5, v8
	v_sub_f16_e32 v48, v10, v12
	v_fma_f16 v74, v48, s4, v8
	v_fma_f16 v8, v48, s5, v8
	v_add_f16_e32 v48, v51, v10
	v_add_f16_e32 v10, v10, v12
	;; [unrolled: 1-line block ×3, first 2 shown]
	v_fma_f16 v10, v10, -0.5, v51
	v_sub_f16_e32 v12, v43, v52
	v_add_f16_e32 v48, v53, v66
	v_fma_f16 v43, v12, s5, v10
	v_fma_f16 v10, v12, s4, v10
	v_add_f16_e32 v12, v9, v53
	v_fma_f16 v9, v48, -0.5, v9
	v_sub_f16_e32 v49, v11, v13
	v_fma_f16 v48, v49, s4, v9
	v_fma_f16 v49, v49, s5, v9
	v_add_f16_e32 v9, v62, v11
	v_add_f16_e32 v11, v11, v13
	;; [unrolled: 1-line block ×3, first 2 shown]
	v_fma_f16 v11, v11, -0.5, v62
	v_sub_f16_e32 v13, v53, v66
	v_fma_f16 v72, v13, s5, v11
	v_fma_f16 v73, v13, s4, v11
	v_mul_u32_u24_e32 v11, 0xcc, v14
	s_movk_i32 s4, 0xcc
	v_add_lshl_u32 v218, v11, v15, 2
	v_pack_b32_f16 v2, v2, v4
	ds_write_b32 v218, v2 offset:544
	v_mad_legacy_u16 v2, v44, s4, v45
	v_pack_b32_f16 v11, v67, v69
	v_pack_b32_f16 v13, v70, v41
	v_lshlrev_b32_e32 v219, 2, v2
	v_pack_b32_f16 v2, v6, v42
	v_pack_b32_f16 v4, v68, v40
	ds_write2_b32 v218, v11, v13 offset1:68
	ds_write2_b32 v219, v2, v4 offset1:68
	v_pack_b32_f16 v2, v3, v5
	v_add_f16_e32 v7, v7, v52
	ds_write_b32 v219, v2 offset:544
	v_mad_legacy_u16 v2, v46, s4, v47
	v_lshlrev_b32_e32 v216, 2, v2
	v_pack_b32_f16 v2, v7, v75
	v_pack_b32_f16 v3, v74, v43
	ds_write2_b32 v216, v2, v3 offset1:68
	v_pack_b32_f16 v2, v8, v10
	v_add_f16_e32 v12, v12, v66
	ds_write_b32 v216, v2 offset:544
	v_mad_legacy_u16 v2, v50, s4, v39
	v_lshlrev_b32_e32 v217, 2, v2
	v_pack_b32_f16 v2, v12, v9
	v_pack_b32_f16 v3, v48, v72
	ds_write2_b32 v217, v2, v3 offset1:68
	v_pack_b32_f16 v2, v49, v73
	ds_write_b32 v217, v2 offset:544
	s_waitcnt lgkmcnt(0)
	s_barrier
	ds_read2_b32 v[40:41], v60 offset1:204
	ds_read2_b32 v[42:43], v92 offset0:24 offset1:228
	ds_read2_b32 v[44:45], v93 offset0:48 offset1:252
	;; [unrolled: 1-line block ×4, first 2 shown]
                                        ; implicit-def: $vgpr74
                                        ; implicit-def: $vgpr52
                                        ; implicit-def: $vgpr75
	s_and_saveexec_b64 s[4:5], vcc
	s_cbranch_execz .LBB0_9
; %bb.8:
	v_add_u32_e32 v2, 0x200, v60
	ds_read2_b32 v[36:37], v1 offset0:26 offset1:230
	v_add_u32_e32 v1, 0x1500, v60
	ds_read2_b32 v[48:49], v2 offset0:42 offset1:246
	;; [unrolled: 2-line block ×4, first 2 shown]
	ds_read2_b32 v[52:53], v1 offset0:10 offset1:214
	s_waitcnt lgkmcnt(3)
	v_lshrrev_b32_e32 v72, 16, v48
	v_lshrrev_b32_e32 v73, 16, v49
	;; [unrolled: 1-line block ×3, first 2 shown]
	s_waitcnt lgkmcnt(1)
	v_lshrrev_b32_e32 v55, 16, v34
	v_lshrrev_b32_e32 v54, 16, v35
	;; [unrolled: 1-line block ×5, first 2 shown]
	s_waitcnt lgkmcnt(0)
	v_lshrrev_b32_e32 v75, 16, v52
	v_lshrrev_b32_e32 v76, 16, v53
.LBB0_9:
	s_or_b64 exec, exec, s[4:5]
	v_mad_u64_u32 v[1:2], s[4:5], v231, 36, s[2:3]
	v_subrev_u32_e32 v3, 34, v231
	v_cndmask_b32_e32 v0, v3, v0, vcc
	v_mul_hi_i32_i24_e32 v3, 36, v0
	v_mul_i32_i24_e32 v0, 36, v0
	v_mov_b32_e32 v4, s3
	v_add_co_u32_e64 v77, s[2:3], s2, v0
	global_load_dwordx4 v[8:11], v[1:2], off offset:748
	global_load_dwordx4 v[12:15], v[1:2], off offset:764
	v_addc_co_u32_e64 v78, s[2:3], v4, v3, s[2:3]
	global_load_dword v70, v[1:2], off offset:780
	s_nop 0
	global_load_dwordx4 v[0:3], v[77:78], off offset:748
	global_load_dwordx4 v[4:7], v[77:78], off offset:764
	global_load_dword v62, v[77:78], off offset:780
	s_waitcnt lgkmcnt(4)
	v_lshrrev_b32_e32 v78, 16, v41
	s_waitcnt lgkmcnt(3)
	v_lshrrev_b32_e32 v79, 16, v42
	v_lshrrev_b32_e32 v80, 16, v43
	s_waitcnt lgkmcnt(2)
	v_lshrrev_b32_e32 v81, 16, v44
	s_waitcnt lgkmcnt(1)
	;; [unrolled: 2-line block ×3, first 2 shown]
	v_lshrrev_b32_e32 v85, 16, v50
	s_movk_i32 s5, 0x3b9c
	s_mov_b32 s3, 0xbb9c
	s_mov_b32 s2, 0xb8b4
	s_movk_i32 s4, 0x34f2
	s_movk_i32 s14, 0x38b4
	v_lshrrev_b32_e32 v77, 16, v40
	v_lshrrev_b32_e32 v82, 16, v45
	;; [unrolled: 1-line block ×4, first 2 shown]
	s_movk_i32 s15, 0x3a79
	s_waitcnt vmcnt(5)
	v_mul_f16_sdwa v87, v78, v8 dst_sel:DWORD dst_unused:UNUSED_PAD src0_sel:DWORD src1_sel:WORD_1
	v_mul_f16_sdwa v88, v41, v8 dst_sel:DWORD dst_unused:UNUSED_PAD src0_sel:DWORD src1_sel:WORD_1
	v_fma_f16 v41, v41, v8, -v87
	v_mul_f16_sdwa v89, v79, v9 dst_sel:DWORD dst_unused:UNUSED_PAD src0_sel:DWORD src1_sel:WORD_1
	s_waitcnt vmcnt(1)
	v_mul_f16_sdwa v119, v71, v5 dst_sel:DWORD dst_unused:UNUSED_PAD src0_sel:DWORD src1_sel:WORD_1
	v_mul_f16_sdwa v120, v38, v5 dst_sel:DWORD dst_unused:UNUSED_PAD src0_sel:DWORD src1_sel:WORD_1
	v_fma_f16 v87, v38, v5, -v119
	v_mul_f16_sdwa v38, v74, v6 dst_sel:DWORD dst_unused:UNUSED_PAD src0_sel:DWORD src1_sel:WORD_1
	v_fma_f16 v78, v78, v8, v88
	v_fma_f16 v88, v39, v6, -v38
	v_mul_f16_sdwa v38, v39, v6 dst_sel:DWORD dst_unused:UNUSED_PAD src0_sel:DWORD src1_sel:WORD_1
	v_mul_f16_sdwa v90, v42, v9 dst_sel:DWORD dst_unused:UNUSED_PAD src0_sel:DWORD src1_sel:WORD_1
	v_fma_f16 v42, v42, v9, -v89
	v_fma_f16 v89, v74, v6, v38
	v_mul_f16_sdwa v38, v75, v7 dst_sel:DWORD dst_unused:UNUSED_PAD src0_sel:DWORD src1_sel:WORD_1
	v_fma_f16 v79, v79, v9, v90
	v_fma_f16 v90, v52, v7, -v38
	v_mul_f16_sdwa v38, v52, v7 dst_sel:DWORD dst_unused:UNUSED_PAD src0_sel:DWORD src1_sel:WORD_1
	v_mul_f16_sdwa v91, v80, v10 dst_sel:DWORD dst_unused:UNUSED_PAD src0_sel:DWORD src1_sel:WORD_1
	v_fma_f16 v52, v75, v7, v38
	s_waitcnt vmcnt(0)
	v_mul_f16_sdwa v38, v76, v62 dst_sel:DWORD dst_unused:UNUSED_PAD src0_sel:DWORD src1_sel:WORD_1
	v_mul_f16_sdwa v96, v43, v10 dst_sel:DWORD dst_unused:UNUSED_PAD src0_sel:DWORD src1_sel:WORD_1
	;; [unrolled: 1-line block ×3, first 2 shown]
	v_fma_f16 v43, v43, v10, -v91
	v_fma_f16 v91, v53, v62, -v38
	v_mul_f16_sdwa v38, v53, v62 dst_sel:DWORD dst_unused:UNUSED_PAD src0_sel:DWORD src1_sel:WORD_1
	v_mul_f16_sdwa v98, v44, v11 dst_sel:DWORD dst_unused:UNUSED_PAD src0_sel:DWORD src1_sel:WORD_1
	;; [unrolled: 1-line block ×3, first 2 shown]
	v_fma_f16 v44, v44, v11, -v97
	v_fma_f16 v53, v76, v62, v38
	v_add_f16_e32 v38, v40, v42
	v_mul_f16_sdwa v102, v46, v13 dst_sel:DWORD dst_unused:UNUSED_PAD src0_sel:DWORD src1_sel:WORD_1
	v_mul_f16_sdwa v105, v85, v15 dst_sel:DWORD dst_unused:UNUSED_PAD src0_sel:DWORD src1_sel:WORD_1
	v_fma_f16 v46, v46, v13, -v101
	v_add_f16_e32 v38, v38, v44
	v_mul_f16_sdwa v106, v50, v15 dst_sel:DWORD dst_unused:UNUSED_PAD src0_sel:DWORD src1_sel:WORD_1
	v_fma_f16 v50, v50, v15, -v105
	v_add_f16_e32 v38, v38, v46
	v_fma_f16 v80, v80, v10, v96
	v_fma_f16 v85, v85, v15, v106
	v_add_f16_e32 v96, v38, v50
	v_add_f16_e32 v38, v44, v46
	v_fma_f16 v81, v81, v11, v98
	v_fma_f16 v83, v83, v13, v102
	v_fma_f16 v38, v38, -0.5, v40
	v_sub_f16_e32 v39, v79, v85
	v_fma_f16 v74, v39, s5, v38
	v_sub_f16_e32 v75, v81, v83
	v_sub_f16_e32 v76, v42, v44
	;; [unrolled: 1-line block ×3, first 2 shown]
	v_fma_f16 v38, v39, s3, v38
	v_add_f16_e32 v76, v76, v97
	v_fma_f16 v38, v75, s2, v38
	v_fma_f16 v98, v76, s4, v38
	v_add_f16_e32 v38, v42, v50
	v_fma_f16 v74, v75, s14, v74
	v_fma_f16 v38, v38, -0.5, v40
	v_fma_f16 v97, v76, s4, v74
	v_fma_f16 v40, v75, s3, v38
	v_sub_f16_e32 v74, v44, v42
	v_sub_f16_e32 v76, v46, v50
	v_fma_f16 v38, v75, s5, v38
	v_mul_f16_sdwa v100, v45, v12 dst_sel:DWORD dst_unused:UNUSED_PAD src0_sel:DWORD src1_sel:WORD_1
	v_add_f16_e32 v74, v74, v76
	v_fma_f16 v38, v39, s2, v38
	v_mul_f16_sdwa v99, v82, v12 dst_sel:DWORD dst_unused:UNUSED_PAD src0_sel:DWORD src1_sel:WORD_1
	v_fma_f16 v82, v82, v12, v100
	v_fma_f16 v100, v74, s4, v38
	v_add_f16_e32 v38, v77, v79
	v_add_f16_e32 v38, v38, v81
	;; [unrolled: 1-line block ×5, first 2 shown]
	v_fma_f16 v40, v39, s14, v40
	v_fma_f16 v38, v38, -0.5, v77
	v_sub_f16_e32 v39, v42, v50
	v_fma_f16 v45, v45, v12, -v99
	v_fma_f16 v99, v74, s4, v40
	v_fma_f16 v40, v39, s3, v38
	v_sub_f16_e32 v42, v44, v46
	v_sub_f16_e32 v44, v79, v81
	;; [unrolled: 1-line block ×3, first 2 shown]
	v_fma_f16 v38, v39, s5, v38
	v_add_f16_e32 v44, v44, v46
	v_fma_f16 v38, v42, s14, v38
	v_fma_f16 v102, v44, s4, v38
	v_add_f16_e32 v38, v79, v85
	v_fma_f16 v40, v42, s2, v40
	v_fma_f16 v38, v38, -0.5, v77
	v_fma_f16 v50, v44, s4, v40
	v_fma_f16 v40, v42, s5, v38
	v_sub_f16_e32 v44, v81, v79
	v_sub_f16_e32 v46, v83, v85
	v_fma_f16 v38, v42, s3, v38
	v_add_f16_e32 v44, v44, v46
	v_fma_f16 v38, v39, s14, v38
	v_mul_f16_sdwa v103, v84, v14 dst_sel:DWORD dst_unused:UNUSED_PAD src0_sel:DWORD src1_sel:WORD_1
	v_fma_f16 v83, v44, s4, v38
	v_add_f16_e32 v38, v41, v43
	v_mul_f16_sdwa v104, v47, v14 dst_sel:DWORD dst_unused:UNUSED_PAD src0_sel:DWORD src1_sel:WORD_1
	v_mul_f16_sdwa v107, v86, v70 dst_sel:DWORD dst_unused:UNUSED_PAD src0_sel:DWORD src1_sel:WORD_1
	v_fma_f16 v47, v47, v14, -v103
	v_add_f16_e32 v38, v38, v45
	v_mul_f16_sdwa v108, v51, v70 dst_sel:DWORD dst_unused:UNUSED_PAD src0_sel:DWORD src1_sel:WORD_1
	v_fma_f16 v51, v51, v70, -v107
	v_fma_f16 v40, v39, s2, v40
	v_add_f16_e32 v38, v38, v47
	v_fma_f16 v86, v86, v70, v108
	v_fma_f16 v81, v44, s4, v40
	v_add_f16_e32 v44, v38, v51
	v_add_f16_e32 v38, v45, v47
	v_fma_f16 v84, v84, v14, v104
	v_fma_f16 v38, v38, -0.5, v41
	v_sub_f16_e32 v39, v80, v86
	v_fma_f16 v40, v39, s5, v38
	v_sub_f16_e32 v42, v82, v84
	v_sub_f16_e32 v46, v43, v45
	;; [unrolled: 1-line block ×3, first 2 shown]
	v_fma_f16 v38, v39, s3, v38
	v_fma_f16 v40, v42, s14, v40
	v_add_f16_e32 v46, v46, v74
	v_fma_f16 v38, v42, s2, v38
	v_fma_f16 v75, v46, s4, v40
	;; [unrolled: 1-line block ×3, first 2 shown]
	v_add_f16_e32 v38, v43, v51
	v_fma_f16 v38, v38, -0.5, v41
	v_fma_f16 v40, v42, s3, v38
	v_sub_f16_e32 v41, v45, v43
	v_sub_f16_e32 v74, v47, v51
	v_fma_f16 v38, v42, s5, v38
	v_add_f16_e32 v41, v41, v74
	v_fma_f16 v38, v39, s2, v38
	v_fma_f16 v77, v41, s4, v38
	v_add_f16_e32 v38, v78, v80
	v_add_f16_e32 v38, v38, v82
	;; [unrolled: 1-line block ×5, first 2 shown]
	v_fma_f16 v40, v39, s14, v40
	v_fma_f16 v38, v38, -0.5, v78
	v_sub_f16_e32 v39, v43, v51
	v_fma_f16 v76, v41, s4, v40
	v_fma_f16 v40, v39, s3, v38
	v_sub_f16_e32 v41, v45, v47
	v_sub_f16_e32 v42, v80, v82
	;; [unrolled: 1-line block ×3, first 2 shown]
	v_fma_f16 v38, v39, s5, v38
	v_add_f16_e32 v42, v42, v43
	v_fma_f16 v38, v41, s14, v38
	v_fma_f16 v45, v42, s4, v38
	v_add_f16_e32 v38, v80, v86
	v_fma_f16 v40, v41, s2, v40
	v_fma_f16 v38, v38, -0.5, v78
	v_fma_f16 v43, v42, s4, v40
	v_fma_f16 v40, v41, s5, v38
	;; [unrolled: 1-line block ×4, first 2 shown]
	v_sub_f16_e32 v42, v82, v80
	v_sub_f16_e32 v47, v84, v86
	v_fma_f16 v38, v39, s14, v38
	v_mul_f16_e32 v39, 0x38b4, v43
	v_add_f16_e32 v42, v42, v47
	v_fma_f16 v80, v75, s15, v39
	v_mul_f16_e32 v75, 0xb8b4, v75
	v_fma_f16 v47, v42, s4, v40
	v_fma_f16 v51, v42, s4, v38
	;; [unrolled: 1-line block ×3, first 2 shown]
	v_mul_f16_e32 v43, 0xbb9c, v76
	v_mul_f16_sdwa v111, v55, v1 dst_sel:DWORD dst_unused:UNUSED_PAD src0_sel:DWORD src1_sel:WORD_1
	v_mul_f16_e32 v41, 0x34f2, v77
	v_fma_f16 v103, v47, s4, v43
	v_mul_f16_e32 v43, 0x34f2, v51
	v_mul_f16_sdwa v112, v34, v1 dst_sel:DWORD dst_unused:UNUSED_PAD src0_sel:DWORD src1_sel:WORD_1
	v_mul_f16_sdwa v115, v57, v3 dst_sel:DWORD dst_unused:UNUSED_PAD src0_sel:DWORD src1_sel:WORD_1
	v_fma_f16 v34, v34, v1, -v111
	v_fma_f16 v84, v51, s5, -v41
	;; [unrolled: 1-line block ×3, first 2 shown]
	v_mul_f16_e32 v43, 0x3a79, v45
	v_mul_f16_sdwa v116, v36, v3 dst_sel:DWORD dst_unused:UNUSED_PAD src0_sel:DWORD src1_sel:WORD_1
	v_fma_f16 v36, v36, v3, -v115
	v_add_f16_e32 v38, v96, v44
	v_add_f16_e32 v39, v97, v80
	v_add_f16_e32 v75, v50, v86
	v_fma_f16 v104, v46, s2, -v43
	v_sub_f16_e32 v43, v96, v44
	v_sub_f16_e32 v44, v97, v80
	;; [unrolled: 1-line block ×3, first 2 shown]
	v_add_f16_e32 v50, v48, v34
	v_add_f16_e32 v50, v50, v36
	v_mul_f16_e32 v40, 0x3b9c, v47
	v_add_f16_e32 v50, v50, v87
	v_fma_f16 v55, v55, v1, v112
	v_fma_f16 v82, v76, s4, v40
	v_mul_f16_e32 v42, 0x3a79, v46
	v_add_f16_e32 v96, v50, v90
	v_add_f16_e32 v50, v36, v87
	v_fma_f16 v57, v57, v3, v116
	v_fma_f16 v71, v71, v5, v120
	v_add_f16_e32 v40, v99, v82
	v_fma_f16 v85, v45, s14, -v42
	v_add_f16_e32 v77, v83, v51
	v_sub_f16_e32 v45, v99, v82
	v_sub_f16_e32 v82, v83, v51
	v_fma_f16 v50, v50, -0.5, v48
	v_sub_f16_e32 v51, v55, v52
	v_add_f16_e32 v41, v100, v84
	v_add_f16_e32 v42, v98, v85
	v_sub_f16_e32 v46, v100, v84
	v_sub_f16_e32 v47, v98, v85
	v_fma_f16 v84, v51, s5, v50
	v_sub_f16_e32 v85, v57, v71
	v_sub_f16_e32 v86, v34, v36
	;; [unrolled: 1-line block ×3, first 2 shown]
	v_fma_f16 v50, v51, s3, v50
	v_add_f16_e32 v86, v86, v97
	v_fma_f16 v50, v85, s2, v50
	v_fma_f16 v98, v86, s4, v50
	v_add_f16_e32 v50, v34, v90
	v_fma_f16 v84, v85, s14, v84
	v_fma_f16 v48, v50, -0.5, v48
	v_fma_f16 v97, v86, s4, v84
	v_fma_f16 v50, v85, s3, v48
	v_sub_f16_e32 v84, v36, v34
	v_sub_f16_e32 v86, v87, v90
	v_fma_f16 v48, v85, s5, v48
	v_add_f16_e32 v84, v84, v86
	v_fma_f16 v48, v51, s2, v48
	v_fma_f16 v100, v84, s4, v48
	v_add_f16_e32 v48, v72, v55
	v_add_f16_e32 v48, v48, v57
	;; [unrolled: 1-line block ×4, first 2 shown]
	v_sub_f16_e32 v79, v101, v79
	v_add_f16_e32 v101, v48, v52
	v_add_f16_e32 v48, v57, v71
	v_fma_f16 v50, v51, s14, v50
	v_fma_f16 v48, v48, -0.5, v72
	v_sub_f16_e32 v34, v34, v90
	v_fma_f16 v99, v84, s4, v50
	v_fma_f16 v50, v34, s3, v48
	v_sub_f16_e32 v36, v36, v87
	v_sub_f16_e32 v51, v55, v57
	;; [unrolled: 1-line block ×3, first 2 shown]
	v_fma_f16 v48, v34, s5, v48
	v_add_f16_e32 v51, v51, v84
	v_fma_f16 v48, v36, s14, v48
	v_add_f16_e32 v78, v102, v104
	v_sub_f16_e32 v83, v102, v104
	v_fma_f16 v102, v51, s4, v48
	v_add_f16_e32 v48, v55, v52
	v_mul_f16_sdwa v117, v56, v4 dst_sel:DWORD dst_unused:UNUSED_PAD src0_sel:DWORD src1_sel:WORD_1
	v_fma_f16 v50, v36, s2, v50
	v_fma_f16 v48, v48, -0.5, v72
	v_mul_f16_sdwa v109, v73, v0 dst_sel:DWORD dst_unused:UNUSED_PAD src0_sel:DWORD src1_sel:WORD_1
	v_mul_f16_sdwa v114, v35, v2 dst_sel:DWORD dst_unused:UNUSED_PAD src0_sel:DWORD src1_sel:WORD_1
	;; [unrolled: 1-line block ×3, first 2 shown]
	v_fma_f16 v37, v37, v4, -v117
	v_fma_f16 v90, v51, s4, v50
	v_fma_f16 v50, v36, s5, v48
	v_sub_f16_e32 v51, v57, v55
	v_sub_f16_e32 v52, v71, v52
	v_mul_f16_sdwa v110, v49, v0 dst_sel:DWORD dst_unused:UNUSED_PAD src0_sel:DWORD src1_sel:WORD_1
	v_mul_f16_sdwa v113, v54, v2 dst_sel:DWORD dst_unused:UNUSED_PAD src0_sel:DWORD src1_sel:WORD_1
	v_fma_f16 v49, v49, v0, -v109
	v_fma_f16 v54, v54, v2, v114
	v_fma_f16 v50, v34, s2, v50
	v_add_f16_e32 v51, v51, v52
	v_fma_f16 v36, v36, s3, v48
	v_add_f16_e32 v48, v37, v88
	v_fma_f16 v35, v35, v2, -v113
	v_fma_f16 v56, v56, v4, v118
	v_fma_f16 v55, v51, s4, v50
	v_fma_f16 v34, v34, s14, v36
	v_fma_f16 v48, v48, -0.5, v49
	v_sub_f16_e32 v50, v54, v53
	v_fma_f16 v34, v51, s4, v34
	v_fma_f16 v51, v50, s5, v48
	v_sub_f16_e32 v52, v56, v89
	v_sub_f16_e32 v57, v35, v37
	v_sub_f16_e32 v71, v91, v88
	v_fma_f16 v48, v50, s3, v48
	v_fma_f16 v51, v52, s14, v51
	v_add_f16_e32 v57, v57, v71
	v_fma_f16 v48, v52, s2, v48
	v_fma_f16 v71, v57, s4, v51
	;; [unrolled: 1-line block ×3, first 2 shown]
	v_add_f16_e32 v48, v35, v91
	v_fma_f16 v48, v48, -0.5, v49
	v_add_f16_e32 v36, v49, v35
	v_fma_f16 v49, v52, s3, v48
	v_sub_f16_e32 v51, v37, v35
	v_sub_f16_e32 v72, v88, v91
	v_fma_f16 v48, v52, s5, v48
	v_fma_f16 v73, v73, v0, v110
	v_add_f16_e32 v51, v51, v72
	v_fma_f16 v48, v50, s2, v48
	v_fma_f16 v87, v51, s4, v48
	v_add_f16_e32 v48, v73, v54
	v_add_f16_e32 v48, v48, v56
	;; [unrolled: 1-line block ×4, first 2 shown]
	v_sub_f16_e32 v81, v81, v103
	v_add_f16_e32 v103, v48, v53
	v_add_f16_e32 v48, v56, v89
	v_fma_f16 v49, v50, s14, v49
	v_fma_f16 v48, v48, -0.5, v73
	v_sub_f16_e32 v35, v35, v91
	v_add_f16_e32 v36, v36, v37
	v_fma_f16 v72, v51, s4, v49
	v_fma_f16 v49, v35, s3, v48
	v_sub_f16_e32 v37, v37, v88
	v_sub_f16_e32 v50, v54, v56
	;; [unrolled: 1-line block ×3, first 2 shown]
	v_fma_f16 v48, v35, s5, v48
	v_add_f16_e32 v50, v50, v51
	v_fma_f16 v48, v37, s14, v48
	v_add_f16_e32 v36, v36, v88
	;; [unrolled: 2-line block ×3, first 2 shown]
	v_fma_f16 v49, v37, s2, v49
	v_fma_f16 v48, v48, -0.5, v73
	v_fma_f16 v85, v50, s4, v49
	v_fma_f16 v49, v37, s5, v48
	v_sub_f16_e32 v50, v56, v54
	v_sub_f16_e32 v51, v89, v53
	v_fma_f16 v37, v37, s3, v48
	v_fma_f16 v49, v35, s2, v49
	v_add_f16_e32 v50, v50, v51
	v_fma_f16 v35, v35, s14, v37
	v_fma_f16 v53, v50, s4, v49
	;; [unrolled: 1-line block ×3, first 2 shown]
	v_mul_f16_e32 v51, 0x34f2, v87
	v_mul_f16_e32 v37, 0x38b4, v85
	v_mul_f16_e32 v50, 0x3b9c, v53
	v_fma_f16 v56, v35, s5, -v51
	v_mul_f16_e32 v52, 0x3a79, v57
	v_mul_f16_e32 v35, 0x34f2, v35
	v_fma_f16 v37, v71, s15, v37
	v_fma_f16 v54, v72, s4, v50
	v_fma_f16 v73, v88, s14, -v52
	v_fma_f16 v104, v87, s3, -v35
	v_mul_f16_e32 v35, 0x3a79, v88
	v_add_f16_e32 v36, v36, v91
	v_add_f16_e32 v49, v97, v37
	;; [unrolled: 1-line block ×5, first 2 shown]
	v_fma_f16 v57, v57, s2, -v35
	v_sub_f16_e32 v91, v97, v37
	v_sub_f16_e32 v35, v99, v54
	;; [unrolled: 1-line block ×4, first 2 shown]
	v_pack_b32_f16 v34, v38, v74
	v_pack_b32_f16 v54, v39, v75
	ds_write2_b32 v60, v34, v54 offset1:204
	v_pack_b32_f16 v34, v40, v76
	v_pack_b32_f16 v54, v41, v77
	v_mul_f16_e32 v71, 0xb8b4, v71
	v_mul_f16_e32 v72, 0xbb9c, v72
	ds_write2_b32 v92, v34, v54 offset0:24 offset1:228
	v_pack_b32_f16 v34, v42, v78
	v_pack_b32_f16 v54, v43, v79
	v_fma_f16 v71, v85, s15, v71
	v_fma_f16 v72, v53, s4, v72
	ds_write2_b32 v93, v34, v54 offset0:48 offset1:252
	v_pack_b32_f16 v34, v44, v80
	v_pack_b32_f16 v54, v45, v81
	v_add_f16_e32 v48, v96, v36
	v_add_f16_e32 v51, v100, v56
	;; [unrolled: 1-line block ×6, first 2 shown]
	v_sub_f16_e32 v53, v96, v36
	v_sub_f16_e32 v36, v100, v56
	;; [unrolled: 1-line block ×6, first 2 shown]
	ds_write2_b32 v94, v34, v54 offset0:8 offset1:212
	v_pack_b32_f16 v34, v46, v82
	v_pack_b32_f16 v54, v47, v83
	ds_write2_b32 v95, v34, v54 offset0:32 offset1:236
	s_and_saveexec_b64 s[2:3], vcc
	s_cbranch_execz .LBB0_11
; %bb.10:
	s_mov_b32 s4, 0x5040100
	v_perm_b32 v34, v84, v48, s4
	v_perm_b32 v54, v85, v49, s4
	v_add_u32_e32 v55, 0x200, v60
	ds_write2_b32 v55, v34, v54 offset0:42 offset1:246
	v_perm_b32 v34, v86, v50, s4
	v_perm_b32 v54, v87, v51, s4
	v_add_u32_e32 v55, 0x900, v60
	ds_write2_b32 v55, v34, v54 offset0:2 offset1:206
	v_perm_b32 v34, v88, v52, s4
	v_perm_b32 v54, v89, v53, s4
	v_add_u32_e32 v55, 0xf00, v60
	ds_write2_b32 v55, v34, v54 offset0:26 offset1:230
	v_perm_b32 v34, v90, v91, s4
	v_perm_b32 v54, v72, v35, s4
	v_add_u32_e32 v55, 0x1500, v60
	ds_write2_b32 v55, v34, v54 offset0:50 offset1:254
	v_perm_b32 v34, v73, v36, s4
	v_perm_b32 v54, v244, v37, s4
	v_add_u32_e32 v55, 0x1c00, v60
	ds_write2_b32 v55, v34, v54 offset0:10 offset1:214
.LBB0_11:
	s_or_b64 exec, exec, s[2:3]
	s_waitcnt lgkmcnt(0)
	s_barrier
	s_and_saveexec_b64 s[4:5], s[0:1]
	s_cbranch_execz .LBB0_13
; %bb.12:
	s_add_u32 s14, s6, 0x1fe0
	s_addc_u32 s15, s7, 0
	global_load_dword v34, v59, s[14:15]
	global_load_dword v98, v59, s[14:15] offset:480
	global_load_dword v99, v59, s[14:15] offset:960
	;; [unrolled: 1-line block ×8, first 2 shown]
	v_mov_b32_e32 v54, s15
	v_add_co_u32_e64 v55, s[2:3], s14, v59
	s_movk_i32 s16, 0x1000
	v_addc_co_u32_e64 v56, s[2:3], 0, v54, s[2:3]
	v_add_co_u32_e64 v54, s[2:3], s16, v55
	v_addc_co_u32_e64 v55, s[2:3], 0, v56, s[2:3]
	global_load_dword v106, v[54:55], off offset:224
	global_load_dword v110, v[54:55], off offset:704
	ds_read_b32 v56, v60
	v_or_b32_e32 v57, 0x1e00, v59
	global_load_dword v112, v[54:55], off offset:1184
	global_load_dword v113, v[54:55], off offset:1664
	;; [unrolled: 1-line block ×5, first 2 shown]
	global_load_dword v117, v57, s[14:15]
	v_add_u32_e32 v107, 0x400, v59
	v_add_u32_e32 v108, 0x800, v59
	s_waitcnt lgkmcnt(0)
	v_lshrrev_b32_e32 v92, 16, v56
	v_add_u32_e32 v109, 0xc00, v59
	v_add_u32_e32 v111, 0x1000, v59
	s_waitcnt vmcnt(16)
	v_mul_f16_sdwa v54, v92, v34 dst_sel:DWORD dst_unused:UNUSED_PAD src0_sel:DWORD src1_sel:WORD_1
	v_mul_f16_sdwa v55, v56, v34 dst_sel:DWORD dst_unused:UNUSED_PAD src0_sel:DWORD src1_sel:WORD_1
	v_fma_f16 v54, v56, v34, -v54
	v_fma_f16 v34, v92, v34, v55
	v_pack_b32_f16 v34, v54, v34
	ds_write_b32 v60, v34
	ds_read2_b32 v[54:55], v59 offset0:120 offset1:240
	ds_read2_b32 v[56:57], v107 offset0:104 offset1:224
	;; [unrolled: 1-line block ×5, first 2 shown]
	s_waitcnt lgkmcnt(4)
	v_lshrrev_b32_e32 v34, 16, v54
	s_waitcnt vmcnt(15)
	v_mul_f16_sdwa v118, v54, v98 dst_sel:DWORD dst_unused:UNUSED_PAD src0_sel:DWORD src1_sel:WORD_1
	v_lshrrev_b32_e32 v119, 16, v55
	s_waitcnt vmcnt(14)
	v_mul_f16_sdwa v120, v55, v99 dst_sel:DWORD dst_unused:UNUSED_PAD src0_sel:DWORD src1_sel:WORD_1
	s_waitcnt lgkmcnt(3)
	v_lshrrev_b32_e32 v121, 16, v56
	s_waitcnt vmcnt(13)
	v_mul_f16_sdwa v122, v56, v100 dst_sel:DWORD dst_unused:UNUSED_PAD src0_sel:DWORD src1_sel:WORD_1
	v_lshrrev_b32_e32 v123, 16, v57
	s_waitcnt vmcnt(12)
	v_mul_f16_sdwa v124, v57, v101 dst_sel:DWORD dst_unused:UNUSED_PAD src0_sel:DWORD src1_sel:WORD_1
	s_waitcnt lgkmcnt(2)
	v_lshrrev_b32_e32 v125, 16, v92
	s_waitcnt vmcnt(11)
	v_mul_f16_sdwa v126, v92, v102 dst_sel:DWORD dst_unused:UNUSED_PAD src0_sel:DWORD src1_sel:WORD_1
	v_lshrrev_b32_e32 v127, 16, v93
	v_mul_f16_sdwa v133, v34, v98 dst_sel:DWORD dst_unused:UNUSED_PAD src0_sel:DWORD src1_sel:WORD_1
	v_fma_f16 v34, v34, v98, v118
	v_mul_f16_sdwa v118, v119, v99 dst_sel:DWORD dst_unused:UNUSED_PAD src0_sel:DWORD src1_sel:WORD_1
	s_waitcnt vmcnt(10)
	v_mul_f16_sdwa v128, v93, v103 dst_sel:DWORD dst_unused:UNUSED_PAD src0_sel:DWORD src1_sel:WORD_1
	s_waitcnt lgkmcnt(1)
	v_lshrrev_b32_e32 v129, 16, v94
	s_waitcnt vmcnt(9)
	v_mul_f16_sdwa v130, v94, v104 dst_sel:DWORD dst_unused:UNUSED_PAD src0_sel:DWORD src1_sel:WORD_1
	v_lshrrev_b32_e32 v131, 16, v95
	v_fma_f16 v119, v119, v99, v120
	v_mul_f16_sdwa v120, v121, v100 dst_sel:DWORD dst_unused:UNUSED_PAD src0_sel:DWORD src1_sel:WORD_1
	v_fma_f16 v121, v121, v100, v122
	v_mul_f16_sdwa v122, v123, v101 dst_sel:DWORD dst_unused:UNUSED_PAD src0_sel:DWORD src1_sel:WORD_1
	;; [unrolled: 2-line block ×4, first 2 shown]
	v_fma_f16 v54, v54, v98, -v133
	v_fma_f16 v55, v55, v99, -v118
	s_waitcnt vmcnt(8)
	v_mul_f16_sdwa v132, v95, v105 dst_sel:DWORD dst_unused:UNUSED_PAD src0_sel:DWORD src1_sel:WORD_1
	v_fma_f16 v127, v127, v103, v128
	v_mul_f16_sdwa v128, v129, v104 dst_sel:DWORD dst_unused:UNUSED_PAD src0_sel:DWORD src1_sel:WORD_1
	v_fma_f16 v129, v129, v104, v130
	v_mul_f16_sdwa v130, v131, v105 dst_sel:DWORD dst_unused:UNUSED_PAD src0_sel:DWORD src1_sel:WORD_1
	v_fma_f16 v56, v56, v100, -v120
	v_fma_f16 v57, v57, v101, -v122
	;; [unrolled: 1-line block ×4, first 2 shown]
	v_pack_b32_f16 v34, v54, v34
	v_pack_b32_f16 v54, v55, v119
	v_fma_f16 v94, v94, v104, -v128
	v_fma_f16 v95, v95, v105, -v130
	v_pack_b32_f16 v55, v56, v121
	v_pack_b32_f16 v56, v57, v123
	;; [unrolled: 1-line block ×4, first 2 shown]
	ds_write2_b32 v59, v34, v54 offset0:120 offset1:240
	ds_write2_b32 v107, v55, v56 offset0:104 offset1:224
	ds_write2_b32 v108, v57, v92 offset0:88 offset1:208
	v_fma_f16 v34, v131, v105, v132
	v_pack_b32_f16 v93, v94, v129
	v_pack_b32_f16 v34, v95, v34
	ds_write2_b32 v109, v93, v34 offset0:72 offset1:192
	s_waitcnt lgkmcnt(4)
	v_lshrrev_b32_e32 v34, 16, v96
	s_waitcnt vmcnt(7)
	v_mul_f16_sdwa v54, v34, v106 dst_sel:DWORD dst_unused:UNUSED_PAD src0_sel:DWORD src1_sel:WORD_1
	v_mul_f16_sdwa v55, v96, v106 dst_sel:DWORD dst_unused:UNUSED_PAD src0_sel:DWORD src1_sel:WORD_1
	v_fma_f16 v54, v96, v106, -v54
	v_fma_f16 v34, v34, v106, v55
	v_lshrrev_b32_e32 v56, 16, v97
	v_pack_b32_f16 v34, v54, v34
	s_waitcnt vmcnt(6)
	v_mul_f16_sdwa v54, v56, v110 dst_sel:DWORD dst_unused:UNUSED_PAD src0_sel:DWORD src1_sel:WORD_1
	v_add_u32_e32 v92, 0x1400, v59
	v_fma_f16 v57, v97, v110, -v54
	ds_read2_b32 v[54:55], v92 offset0:40 offset1:160
	v_mul_f16_sdwa v93, v97, v110 dst_sel:DWORD dst_unused:UNUSED_PAD src0_sel:DWORD src1_sel:WORD_1
	v_fma_f16 v56, v56, v110, v93
	v_pack_b32_f16 v56, v57, v56
	ds_write2_b32 v111, v34, v56 offset0:56 offset1:176
	s_waitcnt lgkmcnt(1)
	v_lshrrev_b32_e32 v34, 16, v54
	s_waitcnt vmcnt(5)
	v_mul_f16_sdwa v56, v34, v112 dst_sel:DWORD dst_unused:UNUSED_PAD src0_sel:DWORD src1_sel:WORD_1
	v_fma_f16 v56, v54, v112, -v56
	v_mul_f16_sdwa v54, v54, v112 dst_sel:DWORD dst_unused:UNUSED_PAD src0_sel:DWORD src1_sel:WORD_1
	v_fma_f16 v34, v34, v112, v54
	v_lshrrev_b32_e32 v54, 16, v55
	v_pack_b32_f16 v34, v56, v34
	s_waitcnt vmcnt(4)
	v_mul_f16_sdwa v56, v54, v113 dst_sel:DWORD dst_unused:UNUSED_PAD src0_sel:DWORD src1_sel:WORD_1
	v_add_u32_e32 v94, 0x1800, v59
	v_fma_f16 v93, v55, v113, -v56
	ds_read2_b32 v[56:57], v94 offset0:24 offset1:144
	v_mul_f16_sdwa v55, v55, v113 dst_sel:DWORD dst_unused:UNUSED_PAD src0_sel:DWORD src1_sel:WORD_1
	v_fma_f16 v54, v54, v113, v55
	v_pack_b32_f16 v54, v93, v54
	ds_write2_b32 v92, v34, v54 offset0:40 offset1:160
	s_waitcnt lgkmcnt(1)
	v_lshrrev_b32_e32 v34, 16, v56
	s_waitcnt vmcnt(3)
	v_mul_f16_sdwa v54, v34, v114 dst_sel:DWORD dst_unused:UNUSED_PAD src0_sel:DWORD src1_sel:WORD_1
	v_mul_f16_sdwa v55, v56, v114 dst_sel:DWORD dst_unused:UNUSED_PAD src0_sel:DWORD src1_sel:WORD_1
	v_fma_f16 v54, v56, v114, -v54
	v_fma_f16 v34, v34, v114, v55
	v_lshrrev_b32_e32 v56, 16, v57
	v_pack_b32_f16 v34, v54, v34
	s_waitcnt vmcnt(2)
	v_mul_f16_sdwa v54, v56, v115 dst_sel:DWORD dst_unused:UNUSED_PAD src0_sel:DWORD src1_sel:WORD_1
	v_add_u32_e32 v93, 0x1c00, v59
	v_fma_f16 v92, v57, v115, -v54
	ds_read2_b32 v[54:55], v93 offset0:8 offset1:128
	v_mul_f16_sdwa v57, v57, v115 dst_sel:DWORD dst_unused:UNUSED_PAD src0_sel:DWORD src1_sel:WORD_1
	v_fma_f16 v56, v56, v115, v57
	v_pack_b32_f16 v56, v92, v56
	ds_write2_b32 v94, v34, v56 offset0:24 offset1:144
	s_waitcnt lgkmcnt(1)
	v_lshrrev_b32_e32 v34, 16, v54
	s_waitcnt vmcnt(1)
	v_mul_f16_sdwa v56, v34, v116 dst_sel:DWORD dst_unused:UNUSED_PAD src0_sel:DWORD src1_sel:WORD_1
	v_fma_f16 v56, v54, v116, -v56
	v_mul_f16_sdwa v54, v54, v116 dst_sel:DWORD dst_unused:UNUSED_PAD src0_sel:DWORD src1_sel:WORD_1
	v_fma_f16 v34, v34, v116, v54
	v_lshrrev_b32_e32 v54, 16, v55
	v_pack_b32_f16 v34, v56, v34
	s_waitcnt vmcnt(0)
	v_mul_f16_sdwa v56, v54, v117 dst_sel:DWORD dst_unused:UNUSED_PAD src0_sel:DWORD src1_sel:WORD_1
	v_fma_f16 v56, v55, v117, -v56
	v_mul_f16_sdwa v55, v55, v117 dst_sel:DWORD dst_unused:UNUSED_PAD src0_sel:DWORD src1_sel:WORD_1
	v_fma_f16 v54, v54, v117, v55
	v_pack_b32_f16 v54, v56, v54
	ds_write2_b32 v93, v34, v54 offset0:8 offset1:128
.LBB0_13:
	s_or_b64 exec, exec, s[4:5]
	s_waitcnt lgkmcnt(0)
	s_barrier
	s_and_saveexec_b64 s[2:3], s[0:1]
	s_cbranch_execz .LBB0_15
; %bb.14:
	v_add_u32_e32 v34, 0x200, v60
	ds_read2_b32 v[40:41], v34 offset0:112 offset1:232
	v_add_u32_e32 v34, 0x600, v60
	ds_read2_b32 v[42:43], v34 offset0:96 offset1:216
	;; [unrolled: 2-line block ×6, first 2 shown]
	v_add_u32_e32 v34, 0x1a00, v60
	ds_read2_b32 v[38:39], v60 offset1:120
	ds_read2_b32 v[52:53], v34 offset0:16 offset1:136
	ds_read_b32 v91, v60 offset:7680
	s_waitcnt lgkmcnt(8)
	v_lshrrev_b32_e32 v76, 16, v40
	v_lshrrev_b32_e32 v77, 16, v41
	s_waitcnt lgkmcnt(2)
	v_lshrrev_b32_e32 v74, 16, v38
	v_lshrrev_b32_e32 v75, 16, v39
	;; [unrolled: 1-line block ×12, first 2 shown]
	s_waitcnt lgkmcnt(1)
	v_lshrrev_b32_e32 v88, 16, v52
	v_lshrrev_b32_e32 v89, 16, v53
	s_waitcnt lgkmcnt(0)
	v_lshrrev_b32_e32 v90, 16, v91
.LBB0_15:
	s_or_b64 exec, exec, s[2:3]
	v_sub_f16_e32 v179, v75, v90
	v_add_f16_e32 v119, v91, v39
	v_add_f16_e32 v127, v90, v75
	s_movk_i32 s4, 0x3b76
	v_mul_f16_e32 v97, 0xb5c8, v179
	v_sub_f16_e32 v190, v76, v89
	v_sub_f16_e32 v185, v39, v91
	s_mov_b32 s2, 0xb5c8
	v_mul_f16_e32 v98, 0x3b76, v127
	v_fma_f16 v34, v119, s4, -v97
	s_movk_i32 s5, 0x39e9
	v_add_f16_e32 v134, v53, v40
	v_add_f16_e32 v142, v89, v76
	v_mul_f16_e32 v100, 0xb964, v190
	v_add_f16_e32 v34, v38, v34
	v_fma_f16 v54, v185, s2, v98
	s_mov_b32 s3, 0xb964
	v_sub_f16_e32 v195, v40, v53
	v_mul_f16_e32 v102, 0x39e9, v142
	v_fma_f16 v103, v134, s5, -v100
	v_add_f16_e32 v54, v74, v54
	v_mul_f16_e32 v99, 0xb964, v179
	v_add_f16_e32 v34, v103, v34
	v_fma_f16 v103, v195, s3, v102
	v_mul_f16_e32 v101, 0x39e9, v127
	v_fma_f16 v55, v119, s5, -v99
	s_movk_i32 s15, 0x2de8
	v_add_f16_e32 v54, v103, v54
	v_mul_f16_e32 v103, 0xbbf7, v190
	v_add_f16_e32 v55, v38, v55
	v_fma_f16 v56, v185, s3, v101
	s_movk_i32 s14, 0x3722
	v_mul_f16_e32 v105, 0xbb29, v179
	s_mov_b32 s20, 0xbbf7
	v_mul_f16_e32 v106, 0x2de8, v142
	v_fma_f16 v104, v134, s15, -v103
	v_add_f16_e32 v56, v74, v56
	s_mov_b32 s22, 0xbb29
	v_mul_f16_e32 v108, 0x3722, v127
	v_fma_f16 v57, v119, s14, -v105
	v_add_f16_e32 v55, v104, v55
	v_fma_f16 v104, v195, s20, v106
	s_mov_b32 s18, 0xb8d2
	v_mul_f16_e32 v111, 0xba62, v190
	v_add_f16_e32 v57, v38, v57
	v_fma_f16 v92, v185, s22, v108
	v_mul_f16_e32 v112, 0xbbf7, v179
	v_add_f16_e32 v56, v104, v56
	s_mov_b32 s3, 0xba62
	v_mul_f16_e32 v115, 0xb8d2, v142
	v_fma_f16 v104, v134, s18, -v111
	v_add_f16_e32 v92, v74, v92
	v_mul_f16_e32 v116, 0x2de8, v127
	v_fma_f16 v93, v119, s15, -v112
	v_add_f16_e32 v57, v104, v57
	v_fma_f16 v104, v195, s3, v115
	s_mov_b32 s17, 0xbbdd
	v_mul_f16_e32 v121, 0xb1e1, v190
	v_add_f16_e32 v93, v38, v93
	v_fma_f16 v94, v185, s20, v116
	s_mov_b32 s16, 0xb461
	v_mul_f16_e32 v122, 0xbbb2, v179
	v_add_f16_e32 v92, v104, v92
	s_mov_b32 s21, 0xb1e1
	v_mul_f16_e32 v126, 0xbbdd, v142
	v_fma_f16 v104, v134, s17, -v121
	v_add_f16_e32 v94, v74, v94
	s_mov_b32 s23, 0xbbb2
	v_mul_f16_e32 v128, 0xb461, v127
	v_fma_f16 v95, v119, s16, -v122
	v_add_f16_e32 v93, v104, v93
	v_fma_f16 v104, v195, s21, v126
	v_mul_f16_e32 v135, 0x3836, v190
	v_add_f16_e32 v95, v38, v95
	v_fma_f16 v96, v185, s23, v128
	v_add_f16_e32 v94, v104, v94
	s_movk_i32 s24, 0x3836
	v_mul_f16_e32 v140, 0xbacd, v142
	v_fma_f16 v104, v134, s19, -v135
	v_add_f16_e32 v96, v74, v96
	v_add_f16_e32 v95, v104, v95
	v_fma_f16 v104, v195, s24, v140
	v_sub_f16_e32 v198, v77, v88
	v_add_f16_e32 v96, v104, v96
	v_add_f16_e32 v148, v52, v41
	;; [unrolled: 1-line block ×3, first 2 shown]
	v_mul_f16_e32 v104, 0xbb29, v198
	v_sub_f16_e32 v202, v41, v52
	v_mul_f16_e32 v107, 0x3722, v153
	v_fma_f16 v109, v148, s14, -v104
	v_add_f16_e32 v34, v109, v34
	v_fma_f16 v109, v202, s22, v107
	v_mul_f16_e32 v110, 0xba62, v198
	v_add_f16_e32 v54, v109, v54
	v_mul_f16_e32 v114, 0xb8d2, v153
	v_fma_f16 v109, v148, s18, -v110
	v_add_f16_e32 v55, v109, v55
	v_fma_f16 v109, v202, s3, v114
	v_mul_f16_e32 v120, 0x31e1, v198
	v_add_f16_e32 v56, v109, v56
	s_movk_i32 s25, 0x31e1
	v_mul_f16_e32 v125, 0xbbdd, v153
	v_fma_f16 v109, v148, s17, -v120
	v_add_f16_e32 v57, v109, v57
	v_fma_f16 v109, v202, s25, v125
	v_mul_f16_e32 v132, 0x3bb2, v198
	v_add_f16_e32 v92, v109, v92
	s_movk_i32 s25, 0x3bb2
	;; [unrolled: 7-line block ×3, first 2 shown]
	v_mul_f16_e32 v152, 0x39e9, v153
	v_fma_f16 v109, v148, s5, -v146
	v_add_f16_e32 v95, v109, v95
	v_fma_f16 v109, v202, s26, v152
	v_sub_f16_e32 v205, v78, v87
	v_add_f16_e32 v96, v109, v96
	v_add_f16_e32 v160, v51, v42
	v_add_f16_e32 v165, v87, v78
	v_mul_f16_e32 v109, 0xbbf7, v205
	v_sub_f16_e32 v207, v42, v51
	v_mul_f16_e32 v113, 0x2de8, v165
	v_fma_f16 v117, v160, s15, -v109
	v_add_f16_e32 v34, v117, v34
	v_fma_f16 v117, v207, s20, v113
	v_mul_f16_e32 v118, 0xb1e1, v205
	v_add_f16_e32 v54, v117, v54
	v_mul_f16_e32 v124, 0xbbdd, v165
	v_fma_f16 v117, v160, s17, -v118
	v_add_f16_e32 v55, v117, v55
	v_fma_f16 v117, v207, s21, v124
	v_mul_f16_e32 v131, 0x3bb2, v205
	v_add_f16_e32 v56, v117, v56
	;; [unrolled: 6-line block ×3, first 2 shown]
	s_movk_i32 s27, 0x35c8
	v_mul_f16_e32 v150, 0x3b76, v165
	v_fma_f16 v117, v160, s4, -v144
	v_add_f16_e32 v93, v117, v93
	v_fma_f16 v117, v207, s27, v150
	v_mul_f16_e32 v158, 0xbb29, v205
	v_add_f16_e32 v94, v117, v94
	v_mul_f16_e32 v163, 0x3722, v165
	v_fma_f16 v117, v160, s14, -v158
	v_add_f16_e32 v95, v117, v95
	v_fma_f16 v117, v207, s22, v163
	v_sub_f16_e32 v208, v79, v86
	v_add_f16_e32 v96, v117, v96
	v_add_f16_e32 v171, v50, v43
	;; [unrolled: 1-line block ×3, first 2 shown]
	v_mul_f16_e32 v117, 0xbbb2, v208
	v_sub_f16_e32 v206, v43, v50
	v_mul_f16_e32 v123, 0xb461, v177
	v_fma_f16 v129, v171, s16, -v117
	v_add_f16_e32 v34, v129, v34
	v_fma_f16 v129, v206, s23, v123
	v_mul_f16_e32 v130, 0x3836, v208
	v_add_f16_e32 v54, v129, v54
	v_mul_f16_e32 v136, 0xbacd, v177
	v_fma_f16 v129, v171, s19, -v130
	v_add_f16_e32 v55, v129, v55
	v_fma_f16 v129, v206, s24, v136
	v_mul_f16_e32 v143, 0x3964, v208
	v_add_f16_e32 v56, v129, v56
	;; [unrolled: 6-line block ×4, first 2 shown]
	v_mul_f16_e32 v176, 0xbbdd, v177
	v_fma_f16 v129, v171, s17, -v168
	v_add_f16_e32 v95, v129, v95
	v_fma_f16 v129, v206, s21, v176
	v_sub_f16_e32 v209, v80, v85
	v_add_f16_e32 v96, v129, v96
	v_add_f16_e32 v182, v49, v44
	;; [unrolled: 1-line block ×3, first 2 shown]
	v_mul_f16_e32 v129, 0xba62, v209
	v_sub_f16_e32 v204, v44, v49
	v_mul_f16_e32 v133, 0xb8d2, v187
	v_fma_f16 v139, v182, s18, -v129
	v_add_f16_e32 v34, v139, v34
	v_fma_f16 v139, v204, s3, v133
	v_mul_f16_e32 v141, 0x3bb2, v209
	v_add_f16_e32 v54, v139, v54
	v_mul_f16_e32 v147, 0xb461, v187
	v_fma_f16 v139, v182, s16, -v141
	v_add_f16_e32 v55, v139, v55
	v_fma_f16 v139, v204, s25, v147
	v_mul_f16_e32 v155, 0xb5c8, v209
	v_add_f16_e32 v56, v139, v56
	;; [unrolled: 6-line block ×3, first 2 shown]
	s_mov_b32 s22, 0xb836
	v_mul_f16_e32 v174, 0xbacd, v187
	v_fma_f16 v139, v182, s19, -v167
	v_add_f16_e32 v93, v139, v93
	v_fma_f16 v139, v204, s22, v174
	v_mul_f16_e32 v181, 0x3bf7, v209
	v_add_f16_e32 v94, v139, v94
	s_movk_i32 s23, 0x3bf7
	v_mul_f16_e32 v186, 0x2de8, v187
	v_fma_f16 v139, v182, s15, -v181
	v_add_f16_e32 v95, v139, v95
	v_fma_f16 v139, v204, s23, v186
	v_sub_f16_e32 v210, v81, v84
	v_add_f16_e32 v96, v139, v96
	v_add_f16_e32 v191, v48, v45
	;; [unrolled: 1-line block ×3, first 2 shown]
	v_mul_f16_e32 v139, 0xb836, v210
	v_sub_f16_e32 v201, v45, v48
	v_mul_f16_e32 v145, 0xbacd, v194
	v_fma_f16 v151, v191, s19, -v139
	v_add_f16_e32 v34, v151, v34
	v_fma_f16 v151, v201, s22, v145
	v_mul_f16_e32 v154, 0x3b29, v210
	v_add_f16_e32 v54, v151, v54
	s_movk_i32 s23, 0x3b29
	v_mul_f16_e32 v159, 0x3722, v194
	v_fma_f16 v151, v191, s14, -v154
	v_add_f16_e32 v55, v151, v55
	v_fma_f16 v151, v201, s23, v159
	v_mul_f16_e32 v166, 0xbbf7, v210
	v_add_f16_e32 v56, v151, v56
	v_mul_f16_e32 v172, 0x2de8, v194
	v_fma_f16 v151, v191, s15, -v166
	v_add_f16_e32 v57, v151, v57
	v_fma_f16 v151, v201, s20, v172
	v_mul_f16_e32 v180, 0x3a62, v210
	v_add_f16_e32 v92, v151, v92
	s_movk_i32 s20, 0x3a62
	v_mul_f16_e32 v184, 0xb8d2, v194
	v_fma_f16 v151, v191, s18, -v180
	v_add_f16_e32 v169, v151, v93
	v_fma_f16 v93, v201, s20, v184
	v_mul_f16_e32 v189, 0xb5c8, v210
	v_add_f16_e32 v173, v93, v94
	v_mul_f16_e32 v193, 0x3b76, v194
	v_fma_f16 v93, v191, s4, -v189
	v_sub_f16_e32 v211, v82, v83
	v_add_f16_e32 v95, v93, v95
	v_fma_f16 v93, v201, s2, v193
	v_add_f16_e32 v197, v47, v46
	v_add_f16_e32 v200, v83, v82
	v_mul_f16_e32 v151, 0xb1e1, v211
	v_add_f16_e32 v175, v93, v96
	v_sub_f16_e32 v203, v46, v47
	v_mul_f16_e32 v157, 0xbbdd, v200
	v_fma_f16 v93, v197, s17, -v151
	v_add_f16_e32 v34, v93, v34
	v_fma_f16 v93, v203, s21, v157
	v_mul_f16_e32 v164, 0x35c8, v211
	v_add_f16_e32 v94, v93, v54
	v_mul_f16_e32 v170, 0x3b76, v200
	v_fma_f16 v54, v197, s4, -v164
	v_add_f16_e32 v55, v54, v55
	v_fma_f16 v54, v203, s27, v170
	v_mul_f16_e32 v183, 0xbacd, v200
	v_add_f16_e32 v93, v54, v56
	v_mul_f16_e32 v178, 0xb836, v211
	v_fma_f16 v56, v203, s22, v183
	v_mul_f16_e32 v188, 0x3964, v211
	v_fma_f16 v54, v197, s19, -v178
	v_add_f16_e32 v96, v56, v92
	v_mul_f16_e32 v192, 0x39e9, v200
	v_fma_f16 v56, v197, s5, -v188
	v_add_f16_e32 v54, v54, v57
	v_add_f16_e32 v57, v56, v169
	v_fma_f16 v56, v203, s26, v192
	v_mul_f16_e32 v196, 0xba62, v211
	v_add_f16_e32 v92, v56, v173
	v_mul_f16_e32 v199, 0xb8d2, v200
	v_fma_f16 v56, v197, s18, -v196
	v_add_f16_e32 v56, v56, v95
	v_fma_f16 v95, v203, s3, v199
	v_add_f16_e32 v95, v95, v175
	s_barrier
	s_and_saveexec_b64 s[2:3], s[0:1]
	s_cbranch_execz .LBB0_17
; %bb.16:
	v_mul_f16_e32 v61, 0x3b76, v119
	buffer_store_dword v61, off, s[52:55], 0 offset:4 ; 4-byte Folded Spill
	v_mul_f16_e32 v61, 0xb5c8, v185
	buffer_store_dword v61, off, s[52:55], 0 offset:16 ; 4-byte Folded Spill
	;; [unrolled: 2-line block ×32, first 2 shown]
	v_mul_f16_e32 v61, 0xbacd, v171
	v_mul_f16_e32 v253, 0xba62, v185
	buffer_store_dword v61, off, s[52:55], 0 offset:80 ; 4-byte Folded Spill
	v_mul_f16_e32 v61, 0x3836, v206
	v_fma_f16 v254, v127, s18, v253
	v_mul_f16_e32 v255, 0x3bb2, v195
	buffer_store_dword v61, off, s[52:55], 0 offset:100 ; 4-byte Folded Spill
	v_add_f16_e32 v254, v74, v254
	v_fma_f16 v61, v142, s16, v255
	v_add_f16_e32 v61, v61, v254
	v_mul_f16_e32 v254, 0xb5c8, v202
	v_fma_f16 v169, v153, s4, v254
	v_add_f16_e32 v61, v169, v61
	v_mul_f16_e32 v169, 0xb836, v207
	;; [unrolled: 3-line block ×4, first 2 shown]
	v_mov_b32_e32 v58, v212
	v_fma_f16 v212, v187, s5, v175
	v_add_f16_e32 v61, v212, v61
	v_mul_f16_e32 v212, 0xb1e1, v201
	v_fma_f16 v239, v194, s17, v212
	v_add_f16_e32 v61, v239, v61
	v_mul_f16_e32 v239, 0x3b29, v203
	;; [unrolled: 3-line block ×3, first 2 shown]
	v_fma_f16 v249, v119, s18, -v221
	buffer_store_dword v25, off, s[52:55], 0 offset:68 ; 4-byte Folded Spill
	v_mul_f16_e32 v25, 0x3bb2, v190
	v_add_f16_e32 v249, v38, v249
	v_mov_b32_e32 v71, v230
	v_fma_f16 v230, v134, s16, -v25
	v_add_f16_e32 v230, v230, v249
	v_mul_f16_e32 v249, 0xb5c8, v198
	v_fma_f16 v213, v148, s4, -v249
	v_add_f16_e32 v213, v213, v230
	v_mul_f16_e32 v230, 0xb836, v205
	buffer_store_dword v61, off, s[52:55], 0 offset:40 ; 4-byte Folded Spill
	v_fma_f16 v61, v160, s19, -v230
	v_add_f16_e32 v61, v61, v213
	v_mul_f16_e32 v213, 0x3bf7, v208
	v_fma_f16 v240, v171, s15, -v213
	v_add_f16_e32 v61, v240, v61
	v_mul_f16_e32 v240, 0xb964, v209
	;; [unrolled: 3-line block ×4, first 2 shown]
	buffer_store_dword v231, off, s[52:55], 0 ; 4-byte Folded Spill
	v_fma_f16 v231, v197, s14, -v250
	v_add_f16_e32 v61, v231, v61
	v_mul_f16_e32 v231, 0xb836, v185
	v_fma_f16 v214, v127, s19, v231
	v_mul_f16_e32 v63, 0x3b29, v195
	v_add_f16_e32 v214, v74, v214
	v_fma_f16 v64, v142, s14, v63
	v_add_f16_e32 v64, v64, v214
	v_mul_f16_e32 v214, 0xbbf7, v202
	v_fma_f16 v65, v153, s15, v214
	v_add_f16_e32 v64, v65, v64
	v_mul_f16_e32 v65, 0x3a62, v207
	;; [unrolled: 3-line block ×4, first 2 shown]
	buffer_store_dword v61, off, s[52:55], 0 offset:76 ; 4-byte Folded Spill
	v_fma_f16 v61, v187, s17, v223
	v_add_f16_e32 v61, v61, v64
	v_mul_f16_e32 v64, 0x3964, v201
	v_fma_f16 v251, v194, s5, v64
	v_add_f16_e32 v61, v251, v61
	v_mul_f16_e32 v251, 0xbbb2, v203
	;; [unrolled: 3-line block ×3, first 2 shown]
	v_fma_f16 v215, v119, s19, -v232
	v_mul_f16_e32 v66, 0x3b29, v190
	v_add_f16_e32 v215, v38, v215
	v_fma_f16 v67, v134, s14, -v66
	v_add_f16_e32 v67, v67, v215
	v_mul_f16_e32 v215, 0xbbf7, v198
	v_fma_f16 v68, v148, s15, -v215
	v_add_f16_e32 v67, v68, v67
	v_mul_f16_e32 v68, 0x3a62, v205
	;; [unrolled: 3-line block ×6, first 2 shown]
	v_mul_f16_e32 v220, 0xbbb2, v185
	v_fma_f16 v233, v197, s16, -v252
	v_mul_f16_e32 v185, 0xb1e1, v185
	v_mul_f16_e32 v229, 0x3836, v195
	buffer_store_dword v61, off, s[52:55], 0 offset:112 ; 4-byte Folded Spill
	v_add_f16_e32 v61, v233, v67
	v_fma_f16 v233, v127, s17, v185
	v_mul_f16_e32 v195, 0x35c8, v195
	v_mul_f16_e32 v236, 0x3bb2, v202
	;; [unrolled: 1-line block ×3, first 2 shown]
	v_add_f16_e32 v233, v74, v233
	v_mov_b32_e32 v67, v216
	v_fma_f16 v216, v142, s4, v195
	v_mul_f16_e32 v202, 0xb836, v202
	v_mul_f16_e32 v246, 0x35c8, v207
	;; [unrolled: 1-line block ×3, first 2 shown]
	v_add_f16_e32 v216, v216, v233
	v_fma_f16 v233, v153, s19, v202
	v_mul_f16_e32 v207, 0x3964, v207
	v_add_f16_e32 v216, v233, v216
	v_fma_f16 v233, v165, s5, v207
	v_add_f16_e32 v216, v233, v216
	v_mul_f16_e32 v233, 0xba62, v206
	buffer_store_dword v61, off, s[52:55], 0 offset:140 ; 4-byte Folded Spill
	v_fma_f16 v61, v177, s18, v233
	v_add_f16_e32 v61, v61, v216
	v_mul_f16_e32 v216, 0x3b29, v204
	v_fma_f16 v243, v187, s14, v216
	v_add_f16_e32 v61, v243, v61
	v_mul_f16_e32 v243, 0xbbb2, v201
	;; [unrolled: 3-line block ×3, first 2 shown]
	v_fma_f16 v234, v200, s15, v225
	v_mul_f16_e32 v179, 0xb1e1, v179
	v_mul_f16_e32 v227, 0xb461, v119
	v_add_f16_e32 v226, v234, v61
	v_fma_f16 v234, v119, s17, -v179
	v_fma_f16 v179, v119, s17, v179
	v_fma_f16 v232, v119, s19, v232
	;; [unrolled: 1-line block ×3, first 2 shown]
	v_add_f16_e32 v119, v38, v119
	v_fma_f16 v25, v134, s16, v25
	v_add_f16_e32 v25, v25, v119
	v_fma_f16 v119, v148, s4, v249
	v_add_f16_e32 v25, v119, v25
	v_fma_f16 v119, v160, s19, v230
	v_add_f16_e32 v25, v119, v25
	v_fma_f16 v119, v171, s15, v213
	v_fma_f16 v185, v127, s17, -v185
	v_fma_f16 v231, v127, s19, -v231
	v_add_f16_e32 v25, v119, v25
	v_fma_f16 v119, v182, s5, v240
	v_mul_f16_e32 v190, 0x35c8, v190
	v_add_f16_e32 v185, v74, v185
	v_fma_f16 v195, v142, s4, -v195
	v_add_f16_e32 v231, v74, v231
	v_fma_f16 v63, v142, s14, -v63
	v_add_f16_e32 v25, v119, v25
	v_fma_f16 v119, v191, s17, v222
	v_add_f16_e32 v234, v38, v234
	v_mov_b32_e32 v61, v217
	v_fma_f16 v217, v134, s4, -v190
	v_mul_f16_e32 v198, 0xb836, v198
	v_add_f16_e32 v185, v195, v185
	v_fma_f16 v202, v153, s19, -v202
	v_add_f16_e32 v179, v38, v179
	v_fma_f16 v190, v134, s4, v190
	v_add_f16_e32 v63, v63, v231
	v_fma_f16 v214, v153, s15, -v214
	v_add_f16_e32 v232, v38, v232
	v_fma_f16 v66, v134, s14, v66
	v_add_f16_e32 v25, v119, v25
	v_fma_f16 v119, v197, s14, v250
	v_add_f16_e32 v217, v217, v234
	v_fma_f16 v234, v148, s19, -v198
	v_mul_f16_e32 v205, 0x3964, v205
	v_add_f16_e32 v185, v202, v185
	v_fma_f16 v207, v165, s5, -v207
	v_add_f16_e32 v179, v190, v179
	v_fma_f16 v198, v148, s19, v198
	v_add_f16_e32 v63, v214, v63
	v_fma_f16 v65, v165, s18, -v65
	v_add_f16_e32 v66, v66, v232
	v_fma_f16 v215, v148, s15, v215
	v_add_f16_e32 v25, v119, v25
	v_sub_f16_e32 v119, v128, v220
	v_add_f16_e32 v217, v234, v217
	v_fma_f16 v234, v160, s5, -v205
	v_mul_f16_e32 v208, 0xba62, v208
	v_add_f16_e32 v185, v207, v185
	v_fma_f16 v233, v177, s18, -v233
	v_add_f16_e32 v179, v198, v179
	v_fma_f16 v205, v160, s5, v205
	v_add_f16_e32 v63, v65, v63
	v_fma_f16 v241, v177, s4, -v241
	v_add_f16_e32 v66, v215, v66
	v_fma_f16 v68, v160, s18, v68
	v_add_f16_e32 v119, v74, v119
	v_sub_f16_e32 v128, v140, v229
	;; [unrolled: 13-line block ×3, first 2 shown]
	v_add_f16_e32 v217, v234, v217
	v_fma_f16 v234, v182, s14, -v209
	v_mul_f16_e32 v195, 0x3964, v206
	v_mul_f16_e32 v207, 0xbb29, v206
	;; [unrolled: 1-line block ×3, first 2 shown]
	v_add_f16_e32 v185, v216, v185
	v_fma_f16 v243, v194, s16, -v243
	v_add_f16_e32 v179, v208, v179
	v_fma_f16 v209, v182, s14, v209
	v_add_f16_e32 v63, v223, v63
	v_fma_f16 v64, v194, s5, -v64
	v_add_f16_e32 v66, v69, v66
	v_fma_f16 v242, v182, s17, v242
	v_add_f16_e32 v119, v128, v119
	v_sub_f16_e32 v128, v163, v248
	v_add_f16_e32 v185, v243, v185
	v_mul_f16_e32 v243, 0xba62, v204
	v_mul_f16_e32 v190, 0x3bb2, v204
	;; [unrolled: 1-line block ×3, first 2 shown]
	v_add_f16_e32 v179, v209, v179
	v_mul_f16_e32 v209, 0xb836, v204
	v_mul_f16_e32 v204, 0x3bf7, v204
	v_add_f16_e32 v63, v64, v63
	v_fma_f16 v251, v200, s16, -v251
	v_add_f16_e32 v66, v242, v66
	v_fma_f16 v224, v191, s5, v224
	v_add_f16_e32 v119, v128, v119
	v_sub_f16_e32 v128, v176, v206
	v_mul_f16_e32 v231, 0xb836, v201
	v_mul_f16_e32 v65, 0x3b29, v201
	;; [unrolled: 1-line block ×3, first 2 shown]
	v_add_f16_e32 v63, v251, v63
	v_mul_f16_e32 v251, 0x3a62, v201
	v_mul_f16_e32 v201, 0xb5c8, v201
	v_add_f16_e32 v66, v224, v66
	v_fma_f16 v252, v197, s16, v252
	v_add_f16_e32 v119, v128, v119
	v_sub_f16_e32 v128, v186, v204
	v_mul_f16_e32 v68, 0xb1e1, v203
	v_mul_f16_e32 v242, 0x35c8, v203
	v_add_f16_e32 v66, v252, v66
	v_mul_f16_e32 v252, 0xb836, v203
	v_fma_f16 v142, v142, s16, -v255
	v_mul_f16_e32 v255, 0x3964, v203
	v_mul_f16_e32 v203, 0xba62, v203
	v_add_f16_e32 v119, v128, v119
	v_sub_f16_e32 v128, v193, v201
	v_mul_f16_e32 v228, 0xbacd, v134
	v_add_f16_e32 v119, v128, v119
	v_sub_f16_e32 v128, v199, v203
	v_add_f16_e32 v122, v227, v122
	v_mul_f16_e32 v237, 0x39e9, v148
	v_add_f16_e32 v119, v128, v119
	v_add_f16_e32 v122, v38, v122
	;; [unrolled: 1-line block ×3, first 2 shown]
	v_mul_f16_e32 v247, 0x3722, v160
	v_mul_f16_e32 v210, 0xbbb2, v210
	v_add_f16_e32 v122, v128, v122
	v_add_f16_e32 v128, v237, v146
	;; [unrolled: 1-line block ×3, first 2 shown]
	v_fma_f16 v234, v191, s16, -v210
	v_mul_f16_e32 v233, 0xbbdd, v171
	v_fma_f16 v210, v191, s16, v210
	v_add_f16_e32 v122, v128, v122
	v_add_f16_e32 v128, v247, v158
	;; [unrolled: 1-line block ×3, first 2 shown]
	v_mul_f16_e32 v210, 0x2de8, v182
	v_fma_f16 v127, v127, s18, -v253
	v_add_f16_e32 v122, v128, v122
	v_add_f16_e32 v128, v233, v168
	v_mul_f16_e32 v232, 0x3b76, v191
	v_add_f16_e32 v127, v74, v127
	v_add_f16_e32 v122, v128, v122
	;; [unrolled: 1-line block ×4, first 2 shown]
	v_mul_f16_e32 v142, 0xb8d2, v197
	v_add_f16_e32 v122, v128, v122
	v_add_f16_e32 v128, v232, v189
	;; [unrolled: 1-line block ×5, first 2 shown]
	buffer_load_dword v128, off, s[52:55], 0 offset:148 ; 4-byte Folded Reload
	v_mul_f16_e32 v202, 0x3722, v171
	v_mul_f16_e32 v208, 0xbacd, v182
	;; [unrolled: 1-line block ×4, first 2 shown]
	v_add_f16_e32 v64, v64, v180
	v_mul_f16_e32 v211, 0x3bf7, v211
	v_add_f16_e32 v217, v234, v217
	v_fma_f16 v234, v197, s15, -v211
	v_add_f16_e32 v217, v234, v217
	v_mul_f16_e32 v234, 0x39e9, v171
	v_mul_f16_e32 v198, 0x3b76, v182
	;; [unrolled: 1-line block ×4, first 2 shown]
	v_sub_f16_e32 v65, v159, v65
	v_fma_f16 v225, v200, s15, -v225
	v_add_f16_e32 v185, v225, v185
	v_mul_f16_e32 v225, 0xb461, v182
	v_mul_f16_e32 v214, 0x3722, v191
	;; [unrolled: 1-line block ×3, first 2 shown]
	v_add_f16_e32 v69, v69, v164
	v_mov_b32_e32 v230, v71
	v_sub_f16_e32 v68, v157, v68
	v_mul_f16_e32 v216, 0xb8d2, v182
	v_fma_f16 v211, v197, s15, v211
	v_add_f16_e32 v179, v211, v179
	v_mul_f16_e32 v211, 0xbacd, v191
	v_fma_f16 v153, v153, s4, -v254
	v_mul_f16_e32 v215, 0xbbdd, v197
	v_add_f16_e32 v127, v153, v127
	v_fma_f16 v153, v165, s19, -v169
	v_add_f16_e32 v127, v153, v127
	v_fma_f16 v153, v177, s15, -v173
	v_add_f16_e32 v127, v153, v127
	v_fma_f16 v153, v187, s5, -v175
	v_add_f16_e32 v127, v153, v127
	v_fma_f16 v153, v194, s17, -v212
	v_add_f16_e32 v127, v153, v127
	v_fma_f16 v153, v200, s14, -v239
	v_add_f16_e32 v127, v153, v127
	v_pack_b32_f16 v25, v25, v127
	s_mov_b32 s4, 0x5040100
	v_mov_b32_e32 v212, v58
	buffer_load_dword v71, off, s[52:55], 0 offset:4 ; 4-byte Folded Reload
	s_waitcnt vmcnt(1)
	v_sub_f16_e32 v116, v116, v128
	buffer_load_dword v128, off, s[52:55], 0 offset:156 ; 4-byte Folded Reload
	v_add_f16_e32 v116, v74, v116
	s_waitcnt vmcnt(1)
	v_add_f16_e32 v97, v71, v97
	buffer_load_dword v71, off, s[52:55], 0 offset:8 ; 4-byte Folded Reload
	v_add_f16_e32 v97, v38, v97
	s_waitcnt vmcnt(1)
	v_sub_f16_e32 v126, v126, v128
	v_add_f16_e32 v116, v126, v116
	v_sub_f16_e32 v126, v138, v236
	v_add_f16_e32 v116, v126, v116
	;; [unrolled: 2-line block ×7, first 2 shown]
	buffer_load_dword v126, off, s[52:55], 0 offset:128 ; 4-byte Folded Reload
	s_waitcnt vmcnt(0)
	v_add_f16_e32 v112, v126, v112
	buffer_load_dword v126, off, s[52:55], 0 offset:136 ; 4-byte Folded Reload
	v_add_f16_e32 v112, v38, v112
	s_waitcnt vmcnt(0)
	v_add_f16_e32 v121, v126, v121
	v_add_f16_e32 v112, v121, v112
	buffer_load_dword v121, off, s[52:55], 0 offset:144 ; 4-byte Folded Reload
	s_waitcnt vmcnt(0)
	v_add_f16_e32 v121, v121, v132
	v_add_f16_e32 v112, v121, v112
	buffer_load_dword v121, off, s[52:55], 0 offset:152 ; 4-byte Folded Reload
	s_waitcnt vmcnt(0)
	v_add_f16_e32 v121, v121, v144
	v_add_f16_e32 v112, v121, v112
	;; [unrolled: 1-line block ×9, first 2 shown]
	buffer_load_dword v112, off, s[52:55], 0 offset:108 ; 4-byte Folded Reload
	s_waitcnt vmcnt(0)
	v_sub_f16_e32 v108, v108, v112
	buffer_load_dword v112, off, s[52:55], 0 offset:120 ; 4-byte Folded Reload
	v_add_f16_e32 v108, v74, v108
	s_waitcnt vmcnt(0)
	v_sub_f16_e32 v112, v115, v112
	v_add_f16_e32 v108, v112, v108
	buffer_load_dword v112, off, s[52:55], 0 offset:124 ; 4-byte Folded Reload
	s_waitcnt vmcnt(0)
	v_sub_f16_e32 v112, v125, v112
	v_add_f16_e32 v108, v112, v108
	buffer_load_dword v112, off, s[52:55], 0 offset:132 ; 4-byte Folded Reload
	s_waitcnt vmcnt(0)
	v_sub_f16_e32 v112, v137, v112
	v_add_f16_e32 v108, v112, v108
	v_sub_f16_e32 v112, v149, v195
	v_add_f16_e32 v108, v112, v108
	;; [unrolled: 2-line block ×5, first 2 shown]
	buffer_load_dword v112, off, s[52:55], 0 offset:88 ; 4-byte Folded Reload
	s_waitcnt vmcnt(0)
	v_add_f16_e32 v105, v112, v105
	buffer_load_dword v112, off, s[52:55], 0 offset:96 ; 4-byte Folded Reload
	v_add_f16_e32 v105, v38, v105
	s_waitcnt vmcnt(0)
	v_add_f16_e32 v111, v112, v111
	v_add_f16_e32 v105, v111, v105
	buffer_load_dword v111, off, s[52:55], 0 offset:104 ; 4-byte Folded Reload
	s_waitcnt vmcnt(0)
	v_add_f16_e32 v111, v111, v120
	v_add_f16_e32 v105, v111, v105
	buffer_load_dword v111, off, s[52:55], 0 offset:116 ; 4-byte Folded Reload
	s_waitcnt vmcnt(0)
	v_add_f16_e32 v111, v111, v131
	v_add_f16_e32 v105, v111, v105
	;; [unrolled: 1-line block ×10, first 2 shown]
	buffer_load_dword v111, off, s[52:55], 0 offset:60 ; 4-byte Folded Reload
	s_waitcnt vmcnt(0)
	v_sub_f16_e32 v101, v101, v111
	buffer_load_dword v111, off, s[52:55], 0 offset:72 ; 4-byte Folded Reload
	v_add_f16_e32 v101, v74, v101
	s_waitcnt vmcnt(0)
	v_sub_f16_e32 v106, v106, v111
	v_add_f16_e32 v101, v106, v101
	buffer_load_dword v106, off, s[52:55], 0 offset:84 ; 4-byte Folded Reload
	s_waitcnt vmcnt(0)
	v_sub_f16_e32 v106, v114, v106
	v_add_f16_e32 v101, v106, v101
	buffer_load_dword v106, off, s[52:55], 0 offset:92 ; 4-byte Folded Reload
	;; [unrolled: 4-line block ×3, first 2 shown]
	s_waitcnt vmcnt(0)
	v_sub_f16_e32 v106, v136, v106
	v_add_f16_e32 v101, v106, v101
	v_sub_f16_e32 v106, v147, v190
	v_add_f16_e32 v101, v106, v101
	v_add_f16_e32 v65, v65, v101
	v_sub_f16_e32 v101, v170, v242
	v_add_f16_e32 v65, v101, v65
	buffer_load_dword v101, off, s[52:55], 0 offset:36 ; 4-byte Folded Reload
	s_waitcnt vmcnt(0)
	v_add_f16_e32 v99, v101, v99
	buffer_load_dword v101, off, s[52:55], 0 offset:48 ; 4-byte Folded Reload
	v_add_f16_e32 v99, v38, v99
	v_add_f16_e32 v38, v39, v38
	;; [unrolled: 1-line block ×4, first 2 shown]
	buffer_load_dword v40, off, s[52:55], 0 offset:68 ; 4-byte Folded Reload
	v_add_f16_e32 v39, v76, v39
	v_add_f16_e32 v38, v41, v38
	;; [unrolled: 1-line block ×29, first 2 shown]
	v_pack_b32_f16 v38, v38, v39
	s_waitcnt vmcnt(1)
	v_add_f16_e32 v101, v101, v103
	v_add_f16_e32 v99, v101, v99
	buffer_load_dword v101, off, s[52:55], 0 offset:56 ; 4-byte Folded Reload
	s_waitcnt vmcnt(1)
	v_lshlrev_b32_e32 v40, 2, v40
	s_waitcnt vmcnt(0)
	v_add_f16_e32 v101, v101, v110
	v_add_f16_e32 v99, v101, v99
	buffer_load_dword v101, off, s[52:55], 0 offset:64 ; 4-byte Folded Reload
	s_waitcnt vmcnt(0)
	v_add_f16_e32 v101, v101, v118
	v_add_f16_e32 v99, v101, v99
	buffer_load_dword v101, off, s[52:55], 0 offset:80 ; 4-byte Folded Reload
	s_waitcnt vmcnt(0)
	v_add_f16_e32 v101, v101, v130
	v_add_f16_e32 v99, v101, v99
	;; [unrolled: 1-line block ×7, first 2 shown]
	buffer_load_dword v99, off, s[52:55], 0 offset:16 ; 4-byte Folded Reload
	v_pack_b32_f16 v39, v69, v65
	s_waitcnt vmcnt(0)
	v_sub_f16_e32 v98, v98, v99
	buffer_load_dword v99, off, s[52:55], 0 offset:24 ; 4-byte Folded Reload
	v_add_f16_e32 v98, v74, v98
	s_waitcnt vmcnt(0)
	v_sub_f16_e32 v99, v102, v99
	v_add_f16_e32 v98, v99, v98
	buffer_load_dword v99, off, s[52:55], 0 offset:32 ; 4-byte Folded Reload
	s_waitcnt vmcnt(0)
	v_sub_f16_e32 v99, v107, v99
	v_add_f16_e32 v98, v99, v98
	buffer_load_dword v99, off, s[52:55], 0 offset:44 ; 4-byte Folded Reload
	;; [unrolled: 4-line block ×3, first 2 shown]
	s_waitcnt vmcnt(0)
	v_sub_f16_e32 v99, v123, v99
	v_add_f16_e32 v98, v99, v98
	v_sub_f16_e32 v99, v133, v243
	v_add_f16_e32 v98, v99, v98
	v_sub_f16_e32 v99, v145, v231
	buffer_load_dword v231, off, s[52:55], 0 ; 4-byte Folded Reload
	v_add_f16_e32 v98, v99, v98
	v_add_f16_e32 v68, v68, v98
	;; [unrolled: 1-line block ×3, first 2 shown]
	buffer_load_dword v71, off, s[52:55], 0 offset:12 ; 4-byte Folded Reload
	v_add_f16_e32 v97, v98, v97
	s_waitcnt vmcnt(0)
	v_add_f16_e32 v98, v71, v104
	buffer_load_dword v71, off, s[52:55], 0 offset:20 ; 4-byte Folded Reload
	v_add_f16_e32 v97, v98, v97
	s_waitcnt vmcnt(0)
	v_add_f16_e32 v98, v71, v109
	;; [unrolled: 4-line block ×3, first 2 shown]
	v_add_f16_e32 v97, v98, v97
	v_add_f16_e32 v98, v216, v129
	;; [unrolled: 1-line block ×7, first 2 shown]
	v_pack_b32_f16 v41, v97, v68
	ds_write2_b32 v40, v38, v41 offset1:1
	v_pack_b32_f16 v38, v105, v108
	ds_write2_b32 v40, v39, v38 offset0:2 offset1:3
	v_pack_b32_f16 v38, v122, v119
	v_pack_b32_f16 v39, v64, v116
	ds_write2_b32 v40, v39, v38 offset0:4 offset1:5
	v_pack_b32_f16 v38, v66, v63
	ds_write2_b32 v40, v25, v38 offset0:6 offset1:7
	v_pack_b32_f16 v25, v217, v226
	v_pack_b32_f16 v38, v179, v185
	ds_write2_b32 v40, v38, v25 offset0:8 offset1:9
	buffer_load_dword v25, off, s[52:55], 0 offset:40 ; 4-byte Folded Reload
	buffer_load_dword v38, off, s[52:55], 0 offset:76 ; 4-byte Folded Reload
	v_mov_b32_e32 v216, v67
	v_mov_b32_e32 v217, v61
	s_waitcnt vmcnt(0)
	v_pack_b32_f16 v25, v38, v25
	buffer_load_dword v38, off, s[52:55], 0 offset:112 ; 4-byte Folded Reload
	buffer_load_dword v39, off, s[52:55], 0 offset:140 ; 4-byte Folded Reload
	s_waitcnt vmcnt(0)
	v_pack_b32_f16 v38, v39, v38
	ds_write2_b32 v40, v38, v25 offset0:10 offset1:11
	v_perm_b32 v25, v92, v57, s4
	v_perm_b32 v38, v95, v56, s4
	ds_write2_b32 v40, v38, v25 offset0:12 offset1:13
	v_perm_b32 v25, v93, v55, s4
	v_perm_b32 v38, v96, v54, s4
	ds_write2_b32 v40, v38, v25 offset0:14 offset1:15
	v_perm_b32 v25, v94, v34, s4
	ds_write_b32 v40, v25 offset:64
.LBB0_17:
	s_or_b64 exec, exec, s[2:3]
	v_add_u32_e32 v25, 0x400, v60
	s_waitcnt lgkmcnt(0)
	s_barrier
	ds_read2_b32 v[41:42], v25 offset0:84 offset1:254
	v_add_u32_e32 v38, 0xf00, v60
	ds_read2_b32 v[43:44], v38 offset0:60 offset1:230
	v_add_u32_e32 v61, 0x1400, v60
	ds_read2_b32 v[45:46], v61 offset0:80 offset1:250
	s_waitcnt lgkmcnt(2)
	v_lshrrev_b32_e32 v52, 16, v42
	v_add_u32_e32 v63, 0xa00, v60
	ds_read2_b32 v[47:48], v63 offset0:40 offset1:210
	v_mul_f16_sdwa v78, v16, v52 dst_sel:DWORD dst_unused:UNUSED_PAD src0_sel:WORD_1 src1_sel:DWORD
	s_waitcnt lgkmcnt(2)
	v_lshrrev_b32_e32 v53, 16, v43
	v_fma_f16 v78, v16, v42, v78
	v_mul_f16_sdwa v42, v16, v42 dst_sel:DWORD dst_unused:UNUSED_PAD src0_sel:WORD_1 src1_sel:DWORD
	v_fma_f16 v16, v16, v52, -v42
	v_mul_f16_sdwa v42, v17, v53 dst_sel:DWORD dst_unused:UNUSED_PAD src0_sel:WORD_1 src1_sel:DWORD
	v_add_u32_e32 v64, 0x1a00, v60
	s_waitcnt lgkmcnt(1)
	v_lshrrev_b32_e32 v65, 16, v46
	v_fma_f16 v42, v17, v43, v42
	v_mul_f16_sdwa v43, v17, v43 dst_sel:DWORD dst_unused:UNUSED_PAD src0_sel:WORD_1 src1_sel:DWORD
	ds_read2_b32 v[49:50], v64 offset0:36 offset1:206
	v_fma_f16 v17, v17, v53, -v43
	v_mul_f16_sdwa v43, v18, v65 dst_sel:DWORD dst_unused:UNUSED_PAD src0_sel:WORD_1 src1_sel:DWORD
	s_waitcnt lgkmcnt(1)
	v_lshrrev_b32_e32 v67, 16, v47
	v_fma_f16 v43, v18, v46, v43
	v_mul_f16_sdwa v46, v18, v46 dst_sel:DWORD dst_unused:UNUSED_PAD src0_sel:WORD_1 src1_sel:DWORD
	v_fma_f16 v18, v18, v65, -v46
	v_mul_f16_sdwa v46, v19, v67 dst_sel:DWORD dst_unused:UNUSED_PAD src0_sel:WORD_1 src1_sel:DWORD
	v_lshrrev_b32_e32 v68, 16, v44
	v_fma_f16 v46, v19, v47, v46
	v_mul_f16_sdwa v47, v19, v47 dst_sel:DWORD dst_unused:UNUSED_PAD src0_sel:WORD_1 src1_sel:DWORD
	v_fma_f16 v19, v19, v67, -v47
	v_mul_f16_sdwa v47, v20, v68 dst_sel:DWORD dst_unused:UNUSED_PAD src0_sel:WORD_1 src1_sel:DWORD
	s_waitcnt lgkmcnt(0)
	v_lshrrev_b32_e32 v69, 16, v49
	v_fma_f16 v47, v20, v44, v47
	v_mul_f16_sdwa v44, v20, v44 dst_sel:DWORD dst_unused:UNUSED_PAD src0_sel:WORD_1 src1_sel:DWORD
	v_fma_f16 v20, v20, v68, -v44
	v_mul_f16_sdwa v44, v21, v69 dst_sel:DWORD dst_unused:UNUSED_PAD src0_sel:WORD_1 src1_sel:DWORD
	ds_read2_b32 v[39:40], v60 offset1:170
	v_lshrrev_b32_e32 v75, 16, v48
	v_fma_f16 v44, v21, v49, v44
	v_mul_f16_sdwa v49, v21, v49 dst_sel:DWORD dst_unused:UNUSED_PAD src0_sel:WORD_1 src1_sel:DWORD
	v_fma_f16 v21, v21, v69, -v49
	v_mul_f16_sdwa v49, v22, v75 dst_sel:DWORD dst_unused:UNUSED_PAD src0_sel:WORD_1 src1_sel:DWORD
	v_lshrrev_b32_e32 v76, 16, v45
	v_fma_f16 v49, v22, v48, v49
	v_mul_f16_sdwa v48, v22, v48 dst_sel:DWORD dst_unused:UNUSED_PAD src0_sel:WORD_1 src1_sel:DWORD
	v_fma_f16 v22, v22, v75, -v48
	v_mul_f16_sdwa v48, v23, v76 dst_sel:DWORD dst_unused:UNUSED_PAD src0_sel:WORD_1 src1_sel:DWORD
	v_lshrrev_b32_e32 v77, 16, v50
	v_fma_f16 v48, v23, v45, v48
	v_mul_f16_sdwa v45, v23, v45 dst_sel:DWORD dst_unused:UNUSED_PAD src0_sel:WORD_1 src1_sel:DWORD
	s_waitcnt lgkmcnt(0)
	v_lshrrev_b32_e32 v51, 16, v39
	v_fma_f16 v23, v23, v76, -v45
	v_mul_f16_sdwa v45, v24, v77 dst_sel:DWORD dst_unused:UNUSED_PAD src0_sel:WORD_1 src1_sel:DWORD
	v_fma_f16 v45, v24, v50, v45
	v_mul_f16_sdwa v50, v24, v50 dst_sel:DWORD dst_unused:UNUSED_PAD src0_sel:WORD_1 src1_sel:DWORD
	v_sub_f16_e32 v42, v39, v42
	v_sub_f16_e32 v17, v51, v17
	;; [unrolled: 1-line block ×4, first 2 shown]
	v_lshrrev_b32_e32 v66, 16, v40
	v_fma_f16 v24, v24, v77, -v50
	v_fma_f16 v39, v39, 2.0, -v42
	v_fma_f16 v50, v51, 2.0, -v17
	;; [unrolled: 1-line block ×4, first 2 shown]
	v_sub_f16_e32 v51, v39, v51
	v_sub_f16_e32 v16, v50, v16
	v_add_f16_e32 v18, v42, v18
	v_sub_f16_e32 v43, v17, v43
	v_sub_f16_e32 v47, v40, v47
	;; [unrolled: 1-line block ×5, first 2 shown]
	v_lshrrev_b32_e32 v74, 16, v41
	v_fma_f16 v39, v39, 2.0, -v51
	v_fma_f16 v50, v50, 2.0, -v16
	;; [unrolled: 1-line block ×8, first 2 shown]
	v_sub_f16_e32 v46, v40, v46
	v_sub_f16_e32 v19, v52, v19
	v_add_f16_e32 v21, v47, v21
	v_sub_f16_e32 v44, v20, v44
	v_sub_f16_e32 v48, v41, v48
	;; [unrolled: 1-line block ×5, first 2 shown]
	v_pack_b32_f16 v39, v39, v50
	v_pack_b32_f16 v17, v42, v17
	v_fma_f16 v40, v40, 2.0, -v46
	v_fma_f16 v52, v52, 2.0, -v19
	;; [unrolled: 1-line block ×8, first 2 shown]
	s_barrier
	ds_write2_b32 v212, v39, v17 offset1:17
	v_pack_b32_f16 v16, v51, v16
	v_pack_b32_f16 v17, v18, v43
	v_sub_f16_e32 v49, v41, v49
	v_sub_f16_e32 v22, v53, v22
	v_add_f16_e32 v24, v48, v24
	v_sub_f16_e32 v45, v23, v45
	ds_write2_b32 v212, v16, v17 offset0:34 offset1:51
	v_pack_b32_f16 v16, v40, v52
	v_pack_b32_f16 v17, v47, v20
	v_fma_f16 v41, v41, 2.0, -v49
	v_fma_f16 v53, v53, 2.0, -v22
	v_fma_f16 v48, v48, 2.0, -v24
	v_fma_f16 v23, v23, 2.0, -v45
	ds_write2_b32 v235, v16, v17 offset1:17
	v_pack_b32_f16 v16, v46, v19
	v_pack_b32_f16 v17, v21, v44
	ds_write2_b32 v235, v16, v17 offset0:34 offset1:51
	v_pack_b32_f16 v16, v41, v53
	v_pack_b32_f16 v17, v48, v23
	ds_write2_b32 v245, v16, v17 offset1:17
	v_pack_b32_f16 v16, v49, v22
	v_pack_b32_f16 v17, v24, v45
	ds_write2_b32 v245, v16, v17 offset0:34 offset1:51
	s_waitcnt lgkmcnt(0)
	s_barrier
	ds_read2_b32 v[16:17], v60 offset1:170
	ds_read2_b32 v[18:19], v63 offset0:40 offset1:210
	ds_read2_b32 v[20:21], v61 offset0:80 offset1:250
	;; [unrolled: 1-line block ×5, first 2 shown]
	s_mov_b32 s2, 0xbaee
	s_waitcnt lgkmcnt(5)
	v_lshrrev_b32_e32 v24, 16, v16
	s_waitcnt lgkmcnt(4)
	v_lshrrev_b32_e32 v43, 16, v18
	v_mul_f16_sdwa v53, v26, v43 dst_sel:DWORD dst_unused:UNUSED_PAD src0_sel:WORD_1 src1_sel:DWORD
	s_waitcnt lgkmcnt(3)
	v_lshrrev_b32_e32 v44, 16, v20
	v_fma_f16 v53, v26, v18, v53
	v_mul_f16_sdwa v18, v26, v18 dst_sel:DWORD dst_unused:UNUSED_PAD src0_sel:WORD_1 src1_sel:DWORD
	v_fma_f16 v18, v26, v43, -v18
	v_mul_f16_sdwa v26, v27, v44 dst_sel:DWORD dst_unused:UNUSED_PAD src0_sel:WORD_1 src1_sel:DWORD
	v_lshrrev_b32_e32 v25, 16, v19
	v_fma_f16 v26, v27, v20, v26
	v_mul_f16_sdwa v20, v27, v20 dst_sel:DWORD dst_unused:UNUSED_PAD src0_sel:WORD_1 src1_sel:DWORD
	v_fma_f16 v20, v27, v44, -v20
	v_mul_f16_sdwa v27, v28, v25 dst_sel:DWORD dst_unused:UNUSED_PAD src0_sel:WORD_1 src1_sel:DWORD
	;; [unrolled: 5-line block ×3, first 2 shown]
	s_waitcnt lgkmcnt(1)
	v_lshrrev_b32_e32 v48, 16, v39
	v_fma_f16 v25, v29, v21, v25
	v_mul_f16_sdwa v21, v29, v21 dst_sel:DWORD dst_unused:UNUSED_PAD src0_sel:WORD_1 src1_sel:DWORD
	s_waitcnt lgkmcnt(0)
	v_lshrrev_b32_e32 v49, 16, v41
	v_fma_f16 v21, v29, v46, -v21
	v_mul_f16_sdwa v28, v30, v48 dst_sel:DWORD dst_unused:UNUSED_PAD src0_sel:WORD_1 src1_sel:DWORD
	v_mul_f16_sdwa v29, v30, v39 dst_sel:DWORD dst_unused:UNUSED_PAD src0_sel:WORD_1 src1_sel:DWORD
	v_lshrrev_b32_e32 v51, 16, v40
	v_fma_f16 v28, v30, v39, v28
	v_fma_f16 v29, v30, v48, -v29
	v_mul_f16_sdwa v30, v31, v49 dst_sel:DWORD dst_unused:UNUSED_PAD src0_sel:WORD_1 src1_sel:DWORD
	v_mul_f16_sdwa v39, v31, v41 dst_sel:DWORD dst_unused:UNUSED_PAD src0_sel:WORD_1 src1_sel:DWORD
	v_fma_f16 v30, v31, v41, v30
	v_fma_f16 v31, v31, v49, -v39
	v_mul_f16_sdwa v39, v32, v51 dst_sel:DWORD dst_unused:UNUSED_PAD src0_sel:WORD_1 src1_sel:DWORD
	v_lshrrev_b32_e32 v52, 16, v42
	v_fma_f16 v39, v32, v40, v39
	v_mul_f16_sdwa v40, v32, v40 dst_sel:DWORD dst_unused:UNUSED_PAD src0_sel:WORD_1 src1_sel:DWORD
	v_fma_f16 v32, v32, v51, -v40
	v_mul_f16_sdwa v40, v33, v52 dst_sel:DWORD dst_unused:UNUSED_PAD src0_sel:WORD_1 src1_sel:DWORD
	v_fma_f16 v40, v33, v42, v40
	v_mul_f16_sdwa v41, v33, v42 dst_sel:DWORD dst_unused:UNUSED_PAD src0_sel:WORD_1 src1_sel:DWORD
	v_add_f16_e32 v42, v53, v26
	v_fma_f16 v33, v33, v52, -v41
	v_add_f16_e32 v41, v16, v53
	v_fma_f16 v16, v42, -0.5, v16
	v_sub_f16_e32 v42, v18, v20
	s_movk_i32 s3, 0x3aee
	v_fma_f16 v43, v42, s2, v16
	v_fma_f16 v42, v42, s3, v16
	v_add_f16_e32 v16, v24, v18
	v_add_f16_e32 v44, v16, v20
	;; [unrolled: 1-line block ×3, first 2 shown]
	v_fma_f16 v16, v16, -0.5, v24
	v_sub_f16_e32 v18, v53, v26
	v_fma_f16 v20, v18, s3, v16
	v_fma_f16 v18, v18, s2, v16
	v_add_f16_e32 v16, v17, v27
	v_add_f16_e32 v41, v41, v26
	;; [unrolled: 1-line block ×4, first 2 shown]
	v_lshrrev_b32_e32 v45, 16, v17
	v_fma_f16 v16, v16, -0.5, v17
	v_sub_f16_e32 v17, v19, v21
	v_fma_f16 v46, v17, s2, v16
	v_fma_f16 v48, v17, s3, v16
	v_add_f16_e32 v16, v45, v19
	v_add_f16_e32 v49, v16, v21
	;; [unrolled: 1-line block ×3, first 2 shown]
	v_fma_f16 v16, v16, -0.5, v45
	v_sub_f16_e32 v17, v27, v25
	v_fma_f16 v19, v17, s3, v16
	v_fma_f16 v21, v17, s2, v16
	v_add_f16_e32 v16, v22, v28
	v_add_f16_e32 v25, v16, v30
	;; [unrolled: 1-line block ×3, first 2 shown]
	v_lshrrev_b32_e32 v47, 16, v22
	v_fma_f16 v16, v16, -0.5, v22
	v_sub_f16_e32 v17, v29, v31
	v_fma_f16 v22, v17, s2, v16
	v_fma_f16 v27, v17, s3, v16
	v_add_f16_e32 v16, v47, v29
	v_add_f16_e32 v45, v16, v31
	;; [unrolled: 1-line block ×3, first 2 shown]
	v_fma_f16 v16, v16, -0.5, v47
	v_sub_f16_e32 v17, v28, v30
	v_fma_f16 v28, v17, s3, v16
	v_fma_f16 v29, v17, s2, v16
	v_add_f16_e32 v16, v23, v39
	v_add_f16_e32 v31, v16, v40
	;; [unrolled: 1-line block ×3, first 2 shown]
	v_lshrrev_b32_e32 v50, 16, v23
	v_fma_f16 v17, v16, -0.5, v23
	v_sub_f16_e32 v23, v32, v33
	v_add_f16_e32 v24, v32, v33
	v_fma_f16 v16, v23, s2, v17
	v_fma_f16 v17, v23, s3, v17
	v_add_f16_e32 v23, v50, v32
	v_fma_f16 v30, v24, -0.5, v50
	v_sub_f16_e32 v32, v39, v40
	v_pack_b32_f16 v18, v42, v18
	v_fma_f16 v24, v32, s3, v30
	v_fma_f16 v30, v32, s2, v30
	s_barrier
	v_pack_b32_f16 v32, v41, v44
	v_pack_b32_f16 v20, v43, v20
	ds_write_b32 v218, v18 offset:544
	v_pack_b32_f16 v18, v26, v49
	v_pack_b32_f16 v19, v46, v19
	ds_write2_b32 v218, v32, v20 offset1:68
	ds_write2_b32 v219, v18, v19 offset1:68
	v_pack_b32_f16 v18, v48, v21
	ds_write_b32 v219, v18 offset:544
	v_pack_b32_f16 v18, v25, v45
	v_pack_b32_f16 v19, v22, v28
	v_add_f16_e32 v23, v23, v33
	ds_write2_b32 v216, v18, v19 offset1:68
	v_pack_b32_f16 v18, v27, v29
	ds_write_b32 v216, v18 offset:544
	v_pack_b32_f16 v18, v31, v23
	v_pack_b32_f16 v19, v16, v24
	ds_write2_b32 v217, v18, v19 offset1:68
	v_pack_b32_f16 v18, v17, v30
	v_add_u32_e32 v31, 0x600, v60
	v_add_u32_e32 v32, 0xc00, v60
	;; [unrolled: 1-line block ×4, first 2 shown]
	ds_write_b32 v217, v18 offset:544
	s_waitcnt lgkmcnt(0)
	s_barrier
	ds_read2_b32 v[18:19], v60 offset1:204
	ds_read2_b32 v[28:29], v31 offset0:24 offset1:228
	ds_read2_b32 v[26:27], v32 offset0:48 offset1:252
	;; [unrolled: 1-line block ×4, first 2 shown]
	s_and_saveexec_b64 s[2:3], vcc
	s_cbranch_execz .LBB0_19
; %bb.18:
	v_add_u32_e32 v25, 0x1500, v60
	v_add_u32_e32 v16, 0x200, v60
	v_add_u32_e32 v24, 0x900, v60
	ds_read2_b32 v[34:35], v25 offset0:50 offset1:254
	v_add_u32_e32 v25, 0x1c00, v60
	ds_read2_b32 v[16:17], v16 offset0:42 offset1:246
	ds_read2_b32 v[56:57], v24 offset0:2 offset1:206
	;; [unrolled: 1-line block ×4, first 2 shown]
	s_waitcnt lgkmcnt(4)
	v_lshrrev_b32_e32 v94, 16, v34
	s_waitcnt lgkmcnt(3)
	v_lshrrev_b32_e32 v24, 16, v16
	v_lshrrev_b32_e32 v30, 16, v17
	s_waitcnt lgkmcnt(2)
	v_lshrrev_b32_e32 v95, 16, v56
	;; [unrolled: 3-line block ×3, first 2 shown]
	v_lshrrev_b32_e32 v93, 16, v55
	v_lshrrev_b32_e32 v72, 16, v35
	s_waitcnt lgkmcnt(0)
	v_lshrrev_b32_e32 v73, 16, v36
	v_lshrrev_b32_e32 v244, 16, v37
.LBB0_19:
	s_or_b64 exec, exec, s[2:3]
	s_waitcnt lgkmcnt(4)
	v_lshrrev_b32_e32 v38, 16, v19
	v_mul_f16_sdwa v48, v8, v38 dst_sel:DWORD dst_unused:UNUSED_PAD src0_sel:WORD_1 src1_sel:DWORD
	s_waitcnt lgkmcnt(3)
	v_lshrrev_b32_e32 v40, 16, v28
	v_fma_f16 v48, v8, v19, v48
	v_mul_f16_sdwa v19, v8, v19 dst_sel:DWORD dst_unused:UNUSED_PAD src0_sel:WORD_1 src1_sel:DWORD
	v_fma_f16 v8, v8, v38, -v19
	v_mul_f16_sdwa v19, v9, v40 dst_sel:DWORD dst_unused:UNUSED_PAD src0_sel:WORD_1 src1_sel:DWORD
	v_lshrrev_b32_e32 v41, 16, v29
	v_fma_f16 v19, v9, v28, v19
	v_mul_f16_sdwa v28, v9, v28 dst_sel:DWORD dst_unused:UNUSED_PAD src0_sel:WORD_1 src1_sel:DWORD
	v_fma_f16 v9, v9, v40, -v28
	v_mul_f16_sdwa v28, v10, v41 dst_sel:DWORD dst_unused:UNUSED_PAD src0_sel:WORD_1 src1_sel:DWORD
	s_waitcnt lgkmcnt(2)
	v_lshrrev_b32_e32 v42, 16, v26
	v_fma_f16 v28, v10, v29, v28
	v_mul_f16_sdwa v29, v10, v29 dst_sel:DWORD dst_unused:UNUSED_PAD src0_sel:WORD_1 src1_sel:DWORD
	v_fma_f16 v10, v10, v41, -v29
	v_mul_f16_sdwa v29, v11, v42 dst_sel:DWORD dst_unused:UNUSED_PAD src0_sel:WORD_1 src1_sel:DWORD
	v_lshrrev_b32_e32 v43, 16, v27
	v_fma_f16 v29, v11, v26, v29
	v_mul_f16_sdwa v26, v11, v26 dst_sel:DWORD dst_unused:UNUSED_PAD src0_sel:WORD_1 src1_sel:DWORD
	v_fma_f16 v11, v11, v42, -v26
	;; [unrolled: 11-line block ×3, first 2 shown]
	v_mul_f16_sdwa v22, v14, v45 dst_sel:DWORD dst_unused:UNUSED_PAD src0_sel:WORD_1 src1_sel:DWORD
	s_waitcnt lgkmcnt(0)
	v_lshrrev_b32_e32 v46, 16, v20
	v_fma_f16 v22, v14, v23, v22
	v_mul_f16_sdwa v23, v14, v23 dst_sel:DWORD dst_unused:UNUSED_PAD src0_sel:WORD_1 src1_sel:DWORD
	v_fma_f16 v14, v14, v45, -v23
	v_mul_f16_sdwa v23, v15, v46 dst_sel:DWORD dst_unused:UNUSED_PAD src0_sel:WORD_1 src1_sel:DWORD
	v_fma_f16 v23, v15, v20, v23
	v_mul_f16_sdwa v20, v15, v20 dst_sel:DWORD dst_unused:UNUSED_PAD src0_sel:WORD_1 src1_sel:DWORD
	v_fma_f16 v15, v15, v46, -v20
	v_add_f16_e32 v40, v29, v27
	v_fma_f16 v40, v40, -0.5, v18
	v_sub_f16_e32 v41, v9, v15
	s_mov_b32 s4, 0xbb9c
	s_movk_i32 s15, 0x3b9c
	v_fma_f16 v42, v41, s4, v40
	v_sub_f16_e32 v43, v11, v13
	s_mov_b32 s5, 0xb8b4
	v_sub_f16_e32 v44, v19, v29
	v_sub_f16_e32 v45, v23, v27
	v_fma_f16 v40, v41, s15, v40
	s_movk_i32 s16, 0x38b4
	v_fma_f16 v42, v43, s5, v42
	v_add_f16_e32 v44, v44, v45
	s_movk_i32 s14, 0x34f2
	v_fma_f16 v40, v43, s16, v40
	v_fma_f16 v42, v44, s14, v42
	;; [unrolled: 1-line block ×3, first 2 shown]
	v_add_f16_e32 v44, v19, v23
	v_lshrrev_b32_e32 v25, 16, v18
	v_add_f16_e32 v38, v18, v19
	v_fma_f16 v18, v44, -0.5, v18
	v_add_f16_e32 v38, v38, v29
	v_fma_f16 v44, v43, s15, v18
	v_sub_f16_e32 v45, v29, v19
	v_sub_f16_e32 v46, v27, v23
	v_fma_f16 v18, v43, s4, v18
	v_add_f16_e32 v43, v11, v13
	v_add_f16_e32 v38, v38, v27
	v_fma_f16 v44, v41, s5, v44
	v_add_f16_e32 v45, v45, v46
	v_fma_f16 v18, v41, s16, v18
	v_fma_f16 v43, v43, -0.5, v25
	v_sub_f16_e32 v19, v19, v23
	v_add_f16_e32 v38, v38, v23
	v_fma_f16 v44, v45, s14, v44
	v_fma_f16 v18, v45, s14, v18
	;; [unrolled: 1-line block ×3, first 2 shown]
	v_sub_f16_e32 v27, v29, v27
	v_sub_f16_e32 v29, v9, v11
	;; [unrolled: 1-line block ×3, first 2 shown]
	v_fma_f16 v43, v19, s4, v43
	v_lshrrev_b32_e32 v47, 16, v21
	v_add_f16_e32 v41, v25, v9
	v_fma_f16 v23, v27, s16, v23
	v_add_f16_e32 v29, v29, v45
	v_fma_f16 v43, v27, s5, v43
	v_mul_f16_sdwa v20, v70, v47 dst_sel:DWORD dst_unused:UNUSED_PAD src0_sel:WORD_1 src1_sel:DWORD
	v_add_f16_e32 v41, v41, v11
	v_fma_f16 v23, v29, s14, v23
	v_fma_f16 v29, v29, s14, v43
	v_add_f16_e32 v43, v9, v15
	v_fma_f16 v20, v70, v21, v20
	v_mul_f16_sdwa v21, v70, v21 dst_sel:DWORD dst_unused:UNUSED_PAD src0_sel:WORD_1 src1_sel:DWORD
	v_add_f16_e32 v41, v41, v13
	v_fma_f16 v25, v43, -0.5, v25
	v_fma_f16 v21, v70, v47, -v21
	v_add_f16_e32 v41, v41, v15
	v_fma_f16 v43, v27, s4, v25
	v_sub_f16_e32 v9, v11, v9
	v_sub_f16_e32 v11, v13, v15
	v_fma_f16 v13, v27, s15, v25
	v_add_f16_e32 v15, v26, v22
	v_fma_f16 v43, v19, s16, v43
	v_add_f16_e32 v9, v9, v11
	v_fma_f16 v13, v19, s5, v13
	v_fma_f16 v15, v15, -0.5, v48
	v_sub_f16_e32 v19, v10, v21
	v_fma_f16 v11, v9, s14, v43
	v_fma_f16 v25, v19, s4, v15
	v_sub_f16_e32 v27, v12, v14
	v_sub_f16_e32 v43, v28, v26
	v_sub_f16_e32 v45, v20, v22
	v_fma_f16 v15, v19, s15, v15
	v_fma_f16 v25, v27, s5, v25
	v_add_f16_e32 v43, v43, v45
	v_fma_f16 v15, v27, s16, v15
	v_fma_f16 v9, v9, s14, v13
	v_add_f16_e32 v13, v48, v28
	;; [unrolled: 3-line block ×3, first 2 shown]
	v_add_f16_e32 v13, v13, v26
	v_fma_f16 v43, v43, -0.5, v48
	v_add_f16_e32 v13, v13, v22
	v_fma_f16 v45, v27, s15, v43
	v_fma_f16 v27, v27, s4, v43
	v_add_f16_e32 v43, v12, v14
	v_add_f16_e32 v13, v13, v20
	v_sub_f16_e32 v46, v26, v28
	v_sub_f16_e32 v47, v22, v20
	v_fma_f16 v43, v43, -0.5, v8
	v_sub_f16_e32 v20, v28, v20
	v_fma_f16 v45, v19, s5, v45
	v_add_f16_e32 v46, v46, v47
	v_fma_f16 v19, v19, s16, v27
	v_fma_f16 v28, v20, s15, v43
	v_sub_f16_e32 v22, v26, v22
	v_fma_f16 v45, v46, s14, v45
	v_fma_f16 v19, v46, s14, v19
	;; [unrolled: 1-line block ×3, first 2 shown]
	v_sub_f16_e32 v28, v10, v12
	v_sub_f16_e32 v46, v21, v14
	v_fma_f16 v43, v20, s4, v43
	v_add_f16_e32 v28, v28, v46
	v_fma_f16 v43, v22, s5, v43
	v_fma_f16 v26, v28, s14, v26
	;; [unrolled: 1-line block ×3, first 2 shown]
	v_add_f16_e32 v43, v10, v21
	v_add_f16_e32 v27, v8, v10
	v_fma_f16 v8, v43, -0.5, v8
	v_add_f16_e32 v27, v27, v12
	v_fma_f16 v43, v22, s4, v8
	v_sub_f16_e32 v10, v12, v10
	v_sub_f16_e32 v12, v14, v21
	v_fma_f16 v8, v22, s15, v8
	v_fma_f16 v43, v20, s16, v43
	v_add_f16_e32 v10, v10, v12
	v_fma_f16 v8, v20, s5, v8
	v_add_f16_e32 v27, v27, v14
	v_fma_f16 v12, v10, s14, v43
	v_fma_f16 v8, v10, s14, v8
	v_mul_f16_e32 v14, 0xb8b4, v26
	s_movk_i32 s17, 0x3a79
	v_mul_f16_e32 v26, 0x3a79, v26
	v_add_f16_e32 v27, v27, v21
	v_fma_f16 v14, v25, s17, v14
	v_mul_f16_e32 v21, 0xbb9c, v12
	v_mul_f16_e32 v43, 0xbb9c, v8
	s_mov_b32 s18, 0xb4f2
	v_fma_f16 v25, v25, s16, v26
	v_mul_f16_e32 v12, 0x34f2, v12
	v_mul_f16_e32 v8, 0xb4f2, v8
	v_add_f16_e32 v10, v38, v13
	v_add_f16_e32 v20, v42, v14
	v_fma_f16 v21, v45, s14, v21
	v_fma_f16 v43, v19, s18, v43
	v_mul_f16_e32 v47, 0xb8b4, v28
	s_mov_b32 s19, 0xba79
	v_add_f16_e32 v49, v41, v27
	v_add_f16_e32 v26, v23, v25
	v_fma_f16 v12, v45, s15, v12
	v_fma_f16 v8, v19, s15, v8
	v_mul_f16_e32 v28, 0xba79, v28
	v_add_f16_e32 v22, v44, v21
	v_add_f16_e32 v46, v18, v43
	v_fma_f16 v47, v15, s19, v47
	v_add_f16_e32 v45, v11, v12
	v_add_f16_e32 v19, v9, v8
	v_fma_f16 v15, v15, s16, v28
	v_sub_f16_e32 v11, v11, v12
	v_pack_b32_f16 v10, v10, v49
	v_pack_b32_f16 v12, v20, v26
	v_add_f16_e32 v48, v40, v47
	v_add_f16_e32 v28, v29, v15
	v_sub_f16_e32 v13, v38, v13
	v_sub_f16_e32 v27, v41, v27
	ds_write2_b32 v60, v10, v12 offset1:204
	v_pack_b32_f16 v10, v22, v45
	v_pack_b32_f16 v12, v46, v19
	v_sub_f16_e32 v14, v42, v14
	v_sub_f16_e32 v21, v44, v21
	;; [unrolled: 1-line block ×7, first 2 shown]
	ds_write2_b32 v31, v10, v12 offset0:24 offset1:228
	v_pack_b32_f16 v10, v48, v28
	v_pack_b32_f16 v12, v13, v27
	ds_write2_b32 v32, v10, v12 offset0:48 offset1:252
	v_pack_b32_f16 v10, v14, v23
	v_pack_b32_f16 v11, v21, v11
	;; [unrolled: 1-line block ×4, first 2 shown]
	ds_write2_b32 v33, v10, v11 offset0:8 offset1:212
	ds_write2_b32 v39, v8, v9 offset0:32 offset1:236
	s_and_saveexec_b64 s[2:3], vcc
	s_cbranch_execz .LBB0_21
; %bb.20:
	v_mul_f16_sdwa v8, v1, v56 dst_sel:DWORD dst_unused:UNUSED_PAD src0_sel:WORD_1 src1_sel:DWORD
	v_mul_f16_sdwa v9, v3, v54 dst_sel:DWORD dst_unused:UNUSED_PAD src0_sel:WORD_1 src1_sel:DWORD
	;; [unrolled: 1-line block ×4, first 2 shown]
	v_fma_f16 v8, v1, v95, -v8
	v_fma_f16 v9, v3, v96, -v9
	;; [unrolled: 1-line block ×4, first 2 shown]
	v_mul_f16_sdwa v14, v1, v95 dst_sel:DWORD dst_unused:UNUSED_PAD src0_sel:WORD_1 src1_sel:DWORD
	v_mul_f16_sdwa v19, v2, v92 dst_sel:DWORD dst_unused:UNUSED_PAD src0_sel:WORD_1 src1_sel:DWORD
	;; [unrolled: 1-line block ×5, first 2 shown]
	v_sub_f16_e32 v10, v8, v9
	v_sub_f16_e32 v13, v11, v12
	v_fma_f16 v1, v1, v56, v14
	v_mul_f16_sdwa v14, v7, v73 dst_sel:DWORD dst_unused:UNUSED_PAD src0_sel:WORD_1 src1_sel:DWORD
	v_mul_f16_sdwa v18, v3, v96 dst_sel:DWORD dst_unused:UNUSED_PAD src0_sel:WORD_1 src1_sel:DWORD
	v_fma_f16 v19, v2, v57, v19
	v_fma_f16 v20, v4, v55, v20
	;; [unrolled: 1-line block ×4, first 2 shown]
	v_mul_f16_sdwa v27, v2, v57 dst_sel:DWORD dst_unused:UNUSED_PAD src0_sel:WORD_1 src1_sel:DWORD
	v_mul_f16_sdwa v31, v4, v55 dst_sel:DWORD dst_unused:UNUSED_PAD src0_sel:WORD_1 src1_sel:DWORD
	v_add_f16_e32 v10, v10, v13
	v_add_f16_e32 v13, v9, v12
	v_fma_f16 v7, v7, v36, v14
	v_fma_f16 v3, v3, v54, v18
	v_mul_f16_sdwa v18, v5, v94 dst_sel:DWORD dst_unused:UNUSED_PAD src0_sel:WORD_1 src1_sel:DWORD
	v_sub_f16_e32 v21, v19, v20
	v_sub_f16_e32 v25, v22, v23
	v_fma_f16 v2, v2, v92, -v27
	v_mul_f16_sdwa v27, v62, v37 dst_sel:DWORD dst_unused:UNUSED_PAD src0_sel:WORD_1 src1_sel:DWORD
	v_fma_f16 v4, v4, v93, -v31
	v_mul_f16_sdwa v31, v6, v35 dst_sel:DWORD dst_unused:UNUSED_PAD src0_sel:WORD_1 src1_sel:DWORD
	v_fma_f16 v13, v13, -0.5, v24
	v_sub_f16_e32 v14, v1, v7
	v_fma_f16 v5, v5, v34, v18
	v_add_f16_e32 v21, v21, v25
	v_mul_f16_sdwa v25, v0, v30 dst_sel:DWORD dst_unused:UNUSED_PAD src0_sel:WORD_1 src1_sel:DWORD
	v_fma_f16 v27, v62, v244, -v27
	v_fma_f16 v6, v6, v72, -v31
	v_fma_f16 v15, v14, s4, v13
	v_sub_f16_e32 v18, v3, v5
	v_fma_f16 v25, v0, v17, v25
	v_add_f16_e32 v26, v20, v23
	v_mul_f16_sdwa v17, v0, v17 dst_sel:DWORD dst_unused:UNUSED_PAD src0_sel:WORD_1 src1_sel:DWORD
	v_sub_f16_e32 v37, v9, v8
	v_sub_f16_e32 v38, v12, v11
	;; [unrolled: 1-line block ×4, first 2 shown]
	v_fma_f16 v13, v14, s15, v13
	v_fma_f16 v15, v18, s5, v15
	v_fma_f16 v26, v26, -0.5, v25
	v_sub_f16_e32 v28, v2, v27
	v_fma_f16 v0, v0, v30, -v17
	v_add_f16_e32 v17, v4, v6
	v_add_f16_e32 v37, v37, v38
	;; [unrolled: 1-line block ×5, first 2 shown]
	v_fma_f16 v13, v18, s16, v13
	v_fma_f16 v15, v10, s14, v15
	;; [unrolled: 1-line block ×3, first 2 shown]
	v_sub_f16_e32 v31, v4, v6
	v_fma_f16 v17, v17, -0.5, v0
	v_fma_f16 v38, v38, -0.5, v24
	v_sub_f16_e32 v40, v20, v19
	v_sub_f16_e32 v41, v23, v22
	v_fma_f16 v44, v44, -0.5, v0
	v_fma_f16 v10, v10, s14, v13
	v_fma_f16 v13, v28, s4, v26
	v_add_f16_e32 v0, v2, v0
	v_fma_f16 v29, v31, s16, v29
	v_fma_f16 v39, v18, s15, v38
	v_add_f16_e32 v40, v40, v41
	v_add_f16_e32 v41, v19, v22
	v_fma_f16 v38, v18, s4, v38
	v_fma_f16 v13, v31, s5, v13
	v_add_f16_e32 v0, v4, v0
	v_fma_f16 v29, v21, s14, v29
	v_sub_f16_e32 v32, v2, v4
	v_sub_f16_e32 v33, v27, v6
	v_fma_f16 v39, v14, s5, v39
	v_fma_f16 v41, v41, -0.5, v25
	v_fma_f16 v38, v14, s16, v38
	v_fma_f16 v13, v21, s14, v13
	v_add_f16_e32 v21, v8, v24
	v_add_f16_e32 v0, v6, v0
	v_sub_f16_e32 v4, v1, v3
	v_sub_f16_e32 v6, v7, v5
	;; [unrolled: 1-line block ×3, first 2 shown]
	v_fma_f16 v39, v37, s14, v39
	v_fma_f16 v42, v31, s4, v41
	;; [unrolled: 1-line block ×4, first 2 shown]
	v_add_f16_e32 v21, v9, v21
	v_add_f16_e32 v0, v27, v0
	;; [unrolled: 1-line block ×4, first 2 shown]
	v_sub_f16_e32 v26, v3, v1
	v_sub_f16_e32 v27, v5, v7
	v_add_f16_e32 v32, v32, v33
	v_fma_f16 v33, v30, s4, v17
	v_sub_f16_e32 v34, v20, v23
	v_fma_f16 v42, v28, s16, v42
	v_fma_f16 v38, v28, s5, v38
	;; [unrolled: 1-line block ×3, first 2 shown]
	v_add_f16_e32 v21, v12, v21
	v_fma_f16 v6, v6, -0.5, v16
	v_sub_f16_e32 v8, v8, v11
	v_add_f16_e32 v26, v26, v27
	v_add_f16_e32 v27, v1, v7
	;; [unrolled: 1-line block ×3, first 2 shown]
	v_fma_f16 v33, v34, s5, v33
	v_fma_f16 v42, v40, s14, v42
	;; [unrolled: 1-line block ×6, first 2 shown]
	v_add_f16_e32 v21, v11, v21
	v_fma_f16 v11, v8, s15, v6
	v_sub_f16_e32 v9, v9, v12
	v_fma_f16 v27, v27, -0.5, v16
	v_fma_f16 v6, v8, s4, v6
	v_add_f16_e32 v1, v3, v1
	v_add_f16_e32 v3, v19, v25
	v_fma_f16 v33, v32, s14, v33
	v_fma_f16 v45, v30, s5, v45
	v_fma_f16 v40, v30, s16, v40
	v_fma_f16 v14, v32, s14, v14
	v_fma_f16 v11, v9, s16, v11
	v_fma_f16 v28, v9, s4, v27
	v_fma_f16 v27, v9, s15, v27
	v_fma_f16 v6, v9, s5, v6
	v_add_f16_e32 v3, v20, v3
	v_mul_f16_e32 v35, 0xba79, v33
	v_fma_f16 v45, v43, s14, v45
	v_fma_f16 v40, v43, s14, v40
	v_mul_f16_e32 v17, 0x3a79, v14
	v_fma_f16 v11, v4, s14, v11
	v_mul_f16_e32 v12, 0xb8b4, v33
	v_fma_f16 v28, v8, s16, v28
	v_fma_f16 v27, v8, s5, v27
	;; [unrolled: 1-line block ×3, first 2 shown]
	v_mul_f16_e32 v6, 0xb8b4, v14
	v_add_f16_e32 v1, v5, v1
	v_add_f16_e32 v3, v23, v3
	v_fma_f16 v35, v29, s16, v35
	v_mul_f16_e32 v46, 0xb4f2, v45
	v_mul_f16_e32 v41, 0x34f2, v40
	v_fma_f16 v17, v13, s16, v17
	v_fma_f16 v12, v29, s19, v12
	;; [unrolled: 1-line block ×3, first 2 shown]
	v_mul_f16_e32 v29, 0xbb9c, v45
	v_fma_f16 v26, v26, s14, v27
	v_mul_f16_e32 v27, 0xbb9c, v40
	v_fma_f16 v6, v13, s17, v6
	v_add_f16_e32 v1, v7, v1
	v_add_f16_e32 v3, v22, v3
	v_fma_f16 v46, v42, s15, v46
	v_fma_f16 v41, v38, s15, v41
	v_sub_f16_e32 v18, v10, v17
	v_sub_f16_e32 v2, v21, v0
	v_fma_f16 v29, v42, s18, v29
	v_fma_f16 v27, v38, s14, v27
	v_sub_f16_e32 v8, v4, v6
	v_sub_f16_e32 v5, v1, v3
	v_add_f16_e32 v10, v10, v17
	v_add_f16_e32 v0, v21, v0
	;; [unrolled: 1-line block ×4, first 2 shown]
	v_sub_f16_e32 v24, v11, v12
	v_add_f16_e32 v9, v39, v46
	v_add_f16_e32 v13, v37, v41
	v_add_f16_e32 v11, v11, v12
	v_add_f16_e32 v12, v28, v29
	v_add_f16_e32 v14, v26, v27
	v_pack_b32_f16 v0, v1, v0
	v_pack_b32_f16 v1, v4, v10
	v_add_u32_e32 v3, 0x200, v60
	v_add_f16_e32 v7, v15, v35
	ds_write2_b32 v3, v0, v1 offset0:42 offset1:246
	v_pack_b32_f16 v0, v14, v13
	v_pack_b32_f16 v1, v12, v9
	v_add_u32_e32 v3, 0x900, v60
	v_sub_f16_e32 v43, v37, v41
	v_sub_f16_e32 v31, v26, v27
	ds_write2_b32 v3, v0, v1 offset0:2 offset1:206
	v_pack_b32_f16 v0, v11, v7
	v_pack_b32_f16 v1, v5, v2
	v_add_u32_e32 v2, 0xf00, v60
	v_sub_f16_e32 v36, v15, v35
	v_sub_f16_e32 v47, v39, v46
	;; [unrolled: 1-line block ×3, first 2 shown]
	ds_write2_b32 v2, v0, v1 offset0:26 offset1:230
	v_pack_b32_f16 v0, v8, v18
	v_pack_b32_f16 v1, v31, v43
	v_add_u32_e32 v2, 0x1500, v60
	ds_write2_b32 v2, v0, v1 offset0:50 offset1:254
	v_pack_b32_f16 v0, v30, v47
	v_pack_b32_f16 v1, v24, v36
	v_add_u32_e32 v2, 0x1c00, v60
	ds_write2_b32 v2, v0, v1 offset0:10 offset1:214
.LBB0_21:
	s_or_b64 exec, exec, s[2:3]
	s_waitcnt lgkmcnt(0)
	s_barrier
	s_and_b64 exec, exec, s[0:1]
	s_cbranch_execz .LBB0_23
; %bb.22:
	global_load_dword v8, v59, s[6:7]
	v_mad_u64_u32 v[0:1], s[0:1], s10, v230, 0
	v_mov_b32_e32 v2, 0x7c00
	v_mad_u64_u32 v[3:4], s[0:1], s8, v231, 0
	v_mad_u64_u32 v[5:6], s[0:1], s11, v230, v[1:2]
	ds_read_b32 v9, v60
	s_mov_b32 s14, 0x10101010
	v_mad_u64_u32 v[6:7], s[0:1], s9, v231, v[4:5]
	v_mov_b32_e32 v1, v5
	s_waitcnt lgkmcnt(0)
	v_lshrrev_b32_e32 v7, 16, v9
	v_mov_b32_e32 v4, v6
	v_lshlrev_b64 v[0:1], 2, v[0:1]
	s_mov_b32 s15, 0x3f401010
	v_mov_b32_e32 v11, s13
	s_movk_i32 s16, 0x1ff
	s_movk_i32 s10, 0xffe
	s_movk_i32 s18, 0x40f
	s_mov_b32 s17, 0x8000
	s_mul_i32 s11, s8, 0x1e0
	s_waitcnt vmcnt(0)
	v_mul_f16_sdwa v5, v7, v8 dst_sel:DWORD dst_unused:UNUSED_PAD src0_sel:DWORD src1_sel:WORD_1
	v_fma_f16 v5, v9, v8, v5
	v_mul_f16_sdwa v6, v9, v8 dst_sel:DWORD dst_unused:UNUSED_PAD src0_sel:DWORD src1_sel:WORD_1
	v_cvt_f32_f16_e32 v5, v5
	v_fma_f16 v6, v8, v7, -v6
	v_cvt_f32_f16_e32 v9, v6
	v_lshlrev_b64 v[7:8], 2, v[3:4]
	v_cvt_f64_f32_e32 v[5:6], v5
	v_add_co_u32_e32 v3, vcc, s12, v0
	v_cvt_f64_f32_e32 v[9:10], v9
	v_mul_f64 v[5:6], v[5:6], s[14:15]
	v_addc_co_u32_e32 v4, vcc, v11, v1, vcc
	v_mul_f64 v[0:1], v[9:10], s[14:15]
	v_add_co_u32_e32 v7, vcc, v3, v7
	v_addc_co_u32_e32 v8, vcc, v4, v8, vcc
	v_and_or_b32 v5, v6, s16, v5
	v_cmp_ne_u32_e32 vcc, 0, v5
	v_lshrrev_b32_e32 v9, 8, v6
	v_and_or_b32 v0, v1, s16, v0
	v_bfe_u32 v10, v6, 20, 11
	v_cndmask_b32_e64 v5, 0, 1, vcc
	v_cmp_ne_u32_e32 vcc, 0, v0
	v_lshrrev_b32_e32 v11, 8, v1
	v_bfe_u32 v12, v1, 20, 11
	v_sub_u32_e32 v13, 0x3f1, v10
	v_cndmask_b32_e64 v0, 0, 1, vcc
	v_and_or_b32 v5, v9, s10, v5
	v_sub_u32_e32 v14, 0x3f1, v12
	v_med3_i32 v9, v13, 0, 13
	v_and_or_b32 v0, v11, s10, v0
	v_or_b32_e32 v13, 0x1000, v5
	v_add_u32_e32 v10, 0xfffffc10, v10
	v_med3_i32 v11, v14, 0, 13
	v_cmp_ne_u32_e32 vcc, 0, v5
	v_or_b32_e32 v15, 0x1000, v0
	v_lshrrev_b32_e32 v17, v9, v13
	v_add_u32_e32 v12, 0xfffffc10, v12
	v_lshl_or_b32 v14, v10, 12, v5
	v_cndmask_b32_e64 v5, 0, 1, vcc
	v_cmp_ne_u32_e32 vcc, 0, v0
	v_lshrrev_b32_e32 v18, v11, v15
	v_lshlrev_b32_e32 v9, v9, v17
	v_lshl_or_b32 v16, v12, 12, v0
	v_cndmask_b32_e64 v0, 0, 1, vcc
	v_lshlrev_b32_e32 v11, v11, v18
	v_cmp_ne_u32_e32 vcc, v9, v13
	v_cndmask_b32_e64 v9, 0, 1, vcc
	v_cmp_ne_u32_e32 vcc, v11, v15
	v_cndmask_b32_e64 v11, 0, 1, vcc
	v_or_b32_e32 v9, v17, v9
	v_cmp_gt_i32_e32 vcc, 1, v10
	v_cndmask_b32_e32 v9, v14, v9, vcc
	v_or_b32_e32 v11, v18, v11
	v_cmp_gt_i32_e32 vcc, 1, v12
	v_and_b32_e32 v13, 7, v9
	v_cndmask_b32_e32 v11, v16, v11, vcc
	v_cmp_lt_i32_e32 vcc, 5, v13
	v_cmp_eq_u32_e64 s[0:1], 3, v13
	v_lshrrev_b32_e32 v9, 2, v9
	v_and_b32_e32 v14, 7, v11
	s_or_b64 vcc, s[0:1], vcc
	v_cmp_lt_i32_e64 s[2:3], 5, v14
	v_cmp_eq_u32_e64 s[4:5], 3, v14
	v_addc_co_u32_e32 v9, vcc, 0, v9, vcc
	v_lshrrev_b32_e32 v11, 2, v11
	s_or_b64 vcc, s[4:5], s[2:3]
	v_addc_co_u32_e32 v11, vcc, 0, v11, vcc
	v_cmp_gt_i32_e32 vcc, 31, v10
	v_cndmask_b32_e32 v9, v2, v9, vcc
	v_cmp_gt_i32_e32 vcc, 31, v12
	v_lshl_or_b32 v5, v5, 9, v2
	v_cndmask_b32_e32 v11, v2, v11, vcc
	v_cmp_eq_u32_e32 vcc, s18, v10
	v_lshrrev_b32_e32 v6, 16, v6
	v_lshl_or_b32 v0, v0, 9, v2
	v_cndmask_b32_e32 v5, v9, v5, vcc
	v_cmp_eq_u32_e32 vcc, s18, v12
	v_lshrrev_b32_e32 v1, 16, v1
	v_cndmask_b32_e32 v0, v11, v0, vcc
	v_and_or_b32 v5, v6, s17, v5
	v_and_or_b32 v0, v1, s17, v0
	v_and_b32_e32 v1, 0xffff, v5
	v_lshl_or_b32 v0, v0, 16, v1
	global_store_dword v[7:8], v0, off
	global_load_dword v5, v59, s[6:7] offset:480
	ds_read2_b32 v[0:1], v59 offset0:120 offset1:240
	s_mul_i32 s0, s9, 0x1e0
	s_mul_hi_u32 s12, s8, 0x1e0
	s_add_i32 s12, s12, s0
	v_add_co_u32_e32 v7, vcc, s11, v7
	s_waitcnt lgkmcnt(0)
	v_lshrrev_b32_e32 v6, 16, v0
	s_waitcnt vmcnt(0)
	v_mul_f16_sdwa v9, v6, v5 dst_sel:DWORD dst_unused:UNUSED_PAD src0_sel:DWORD src1_sel:WORD_1
	v_fma_f16 v9, v0, v5, v9
	v_mul_f16_sdwa v0, v0, v5 dst_sel:DWORD dst_unused:UNUSED_PAD src0_sel:DWORD src1_sel:WORD_1
	v_cvt_f32_f16_e32 v9, v9
	v_fma_f16 v0, v5, v6, -v0
	v_cvt_f32_f16_e32 v0, v0
	v_cvt_f64_f32_e32 v[5:6], v9
	v_cvt_f64_f32_e32 v[9:10], v0
	v_mov_b32_e32 v0, s12
	v_mul_f64 v[5:6], v[5:6], s[14:15]
	v_addc_co_u32_e32 v8, vcc, v8, v0, vcc
	v_mul_f64 v[9:10], v[9:10], s[14:15]
	v_and_or_b32 v0, v6, s16, v5
	v_cmp_ne_u32_e32 vcc, 0, v0
	v_lshrrev_b32_e32 v5, 8, v6
	v_and_or_b32 v9, v10, s16, v9
	v_bfe_u32 v11, v6, 20, 11
	v_cndmask_b32_e64 v0, 0, 1, vcc
	v_cmp_ne_u32_e32 vcc, 0, v9
	v_lshrrev_b32_e32 v12, 8, v10
	v_bfe_u32 v13, v10, 20, 11
	v_sub_u32_e32 v14, 0x3f1, v11
	v_cndmask_b32_e64 v9, 0, 1, vcc
	v_and_or_b32 v0, v5, s10, v0
	v_sub_u32_e32 v15, 0x3f1, v13
	v_med3_i32 v5, v14, 0, 13
	v_and_or_b32 v9, v12, s10, v9
	v_or_b32_e32 v14, 0x1000, v0
	v_add_u32_e32 v11, 0xfffffc10, v11
	v_med3_i32 v12, v15, 0, 13
	v_cmp_ne_u32_e32 vcc, 0, v0
	v_or_b32_e32 v16, 0x1000, v9
	v_lshrrev_b32_e32 v18, v5, v14
	v_add_u32_e32 v13, 0xfffffc10, v13
	v_lshl_or_b32 v15, v11, 12, v0
	v_cndmask_b32_e64 v0, 0, 1, vcc
	v_cmp_ne_u32_e32 vcc, 0, v9
	v_lshrrev_b32_e32 v19, v12, v16
	v_lshlrev_b32_e32 v5, v5, v18
	v_lshl_or_b32 v17, v13, 12, v9
	v_cndmask_b32_e64 v9, 0, 1, vcc
	v_lshlrev_b32_e32 v12, v12, v19
	v_cmp_ne_u32_e32 vcc, v5, v14
	v_cndmask_b32_e64 v5, 0, 1, vcc
	v_cmp_ne_u32_e32 vcc, v12, v16
	v_cndmask_b32_e64 v12, 0, 1, vcc
	v_or_b32_e32 v5, v18, v5
	v_cmp_gt_i32_e32 vcc, 1, v11
	v_cndmask_b32_e32 v5, v15, v5, vcc
	v_or_b32_e32 v12, v19, v12
	v_cmp_gt_i32_e32 vcc, 1, v13
	v_and_b32_e32 v14, 7, v5
	v_cndmask_b32_e32 v12, v17, v12, vcc
	v_cmp_lt_i32_e32 vcc, 5, v14
	v_cmp_eq_u32_e64 s[0:1], 3, v14
	v_lshrrev_b32_e32 v5, 2, v5
	v_and_b32_e32 v15, 7, v12
	s_or_b64 vcc, s[0:1], vcc
	v_cmp_lt_i32_e64 s[2:3], 5, v15
	v_cmp_eq_u32_e64 s[4:5], 3, v15
	v_addc_co_u32_e32 v5, vcc, 0, v5, vcc
	v_lshrrev_b32_e32 v12, 2, v12
	s_or_b64 vcc, s[4:5], s[2:3]
	v_addc_co_u32_e32 v12, vcc, 0, v12, vcc
	v_cmp_gt_i32_e32 vcc, 31, v11
	v_cndmask_b32_e32 v5, v2, v5, vcc
	v_cmp_gt_i32_e32 vcc, 31, v13
	v_lshl_or_b32 v0, v0, 9, v2
	v_cndmask_b32_e32 v12, v2, v12, vcc
	v_cmp_eq_u32_e32 vcc, s18, v11
	v_lshrrev_b32_e32 v6, 16, v6
	v_lshl_or_b32 v9, v9, 9, v2
	v_cndmask_b32_e32 v0, v5, v0, vcc
	v_cmp_eq_u32_e32 vcc, s18, v13
	v_lshrrev_b32_e32 v10, 16, v10
	v_cndmask_b32_e32 v5, v12, v9, vcc
	v_and_or_b32 v0, v6, s17, v0
	v_and_or_b32 v5, v10, s17, v5
	v_and_b32_e32 v0, 0xffff, v0
	v_lshl_or_b32 v0, v5, 16, v0
	global_store_dword v[7:8], v0, off
	global_load_dword v0, v59, s[6:7] offset:960
	v_lshrrev_b32_e32 v5, 16, v1
	v_mov_b32_e32 v9, s12
	v_add_co_u32_e32 v7, vcc, s11, v7
	v_addc_co_u32_e32 v8, vcc, v8, v9, vcc
	s_waitcnt vmcnt(0)
	v_mul_f16_sdwa v6, v5, v0 dst_sel:DWORD dst_unused:UNUSED_PAD src0_sel:DWORD src1_sel:WORD_1
	v_fma_f16 v6, v1, v0, v6
	v_mul_f16_sdwa v1, v1, v0 dst_sel:DWORD dst_unused:UNUSED_PAD src0_sel:DWORD src1_sel:WORD_1
	v_cvt_f32_f16_e32 v6, v6
	v_fma_f16 v0, v0, v5, -v1
	v_cvt_f32_f16_e32 v5, v0
	v_cvt_f64_f32_e32 v[0:1], v6
	v_cvt_f64_f32_e32 v[5:6], v5
	v_mul_f64 v[0:1], v[0:1], s[14:15]
	v_mul_f64 v[5:6], v[5:6], s[14:15]
	v_and_or_b32 v0, v1, s16, v0
	v_cmp_ne_u32_e32 vcc, 0, v0
	v_and_or_b32 v5, v6, s16, v5
	v_lshrrev_b32_e32 v9, 8, v1
	v_bfe_u32 v10, v1, 20, 11
	v_cndmask_b32_e64 v0, 0, 1, vcc
	v_cmp_ne_u32_e32 vcc, 0, v5
	v_lshrrev_b32_e32 v11, 8, v6
	v_bfe_u32 v12, v6, 20, 11
	v_sub_u32_e32 v13, 0x3f1, v10
	v_cndmask_b32_e64 v5, 0, 1, vcc
	v_and_or_b32 v0, v9, s10, v0
	v_sub_u32_e32 v14, 0x3f1, v12
	v_med3_i32 v9, v13, 0, 13
	v_and_or_b32 v5, v11, s10, v5
	v_or_b32_e32 v13, 0x1000, v0
	v_add_u32_e32 v10, 0xfffffc10, v10
	v_med3_i32 v11, v14, 0, 13
	v_cmp_ne_u32_e32 vcc, 0, v0
	v_or_b32_e32 v15, 0x1000, v5
	v_lshrrev_b32_e32 v17, v9, v13
	v_add_u32_e32 v12, 0xfffffc10, v12
	v_lshl_or_b32 v14, v10, 12, v0
	v_cndmask_b32_e64 v0, 0, 1, vcc
	v_cmp_ne_u32_e32 vcc, 0, v5
	v_lshrrev_b32_e32 v18, v11, v15
	v_lshlrev_b32_e32 v9, v9, v17
	v_lshl_or_b32 v16, v12, 12, v5
	v_cndmask_b32_e64 v5, 0, 1, vcc
	v_lshlrev_b32_e32 v11, v11, v18
	v_cmp_ne_u32_e32 vcc, v9, v13
	v_cndmask_b32_e64 v9, 0, 1, vcc
	v_cmp_ne_u32_e32 vcc, v11, v15
	v_cndmask_b32_e64 v11, 0, 1, vcc
	v_or_b32_e32 v9, v17, v9
	v_cmp_gt_i32_e32 vcc, 1, v10
	v_cndmask_b32_e32 v9, v14, v9, vcc
	v_or_b32_e32 v11, v18, v11
	v_cmp_gt_i32_e32 vcc, 1, v12
	v_and_b32_e32 v13, 7, v9
	v_cndmask_b32_e32 v11, v16, v11, vcc
	v_cmp_lt_i32_e32 vcc, 5, v13
	v_cmp_eq_u32_e64 s[0:1], 3, v13
	v_lshrrev_b32_e32 v9, 2, v9
	v_and_b32_e32 v14, 7, v11
	s_or_b64 vcc, s[0:1], vcc
	v_cmp_lt_i32_e64 s[2:3], 5, v14
	v_cmp_eq_u32_e64 s[4:5], 3, v14
	v_addc_co_u32_e32 v9, vcc, 0, v9, vcc
	v_lshrrev_b32_e32 v11, 2, v11
	s_or_b64 vcc, s[4:5], s[2:3]
	v_addc_co_u32_e32 v11, vcc, 0, v11, vcc
	v_cmp_gt_i32_e32 vcc, 31, v10
	v_cndmask_b32_e32 v9, v2, v9, vcc
	v_cmp_gt_i32_e32 vcc, 31, v12
	v_lshl_or_b32 v0, v0, 9, v2
	v_cndmask_b32_e32 v11, v2, v11, vcc
	v_cmp_eq_u32_e32 vcc, s18, v10
	v_lshrrev_b32_e32 v1, 16, v1
	v_lshl_or_b32 v5, v5, 9, v2
	v_cndmask_b32_e32 v0, v9, v0, vcc
	v_cmp_eq_u32_e32 vcc, s18, v12
	v_lshrrev_b32_e32 v6, 16, v6
	v_cndmask_b32_e32 v5, v11, v5, vcc
	v_and_or_b32 v0, v1, s17, v0
	v_and_or_b32 v1, v6, s17, v5
	v_and_b32_e32 v0, 0xffff, v0
	v_lshl_or_b32 v0, v1, 16, v0
	global_store_dword v[7:8], v0, off
	global_load_dword v5, v59, s[6:7] offset:1440
	v_add_u32_e32 v0, 0x400, v59
	ds_read2_b32 v[0:1], v0 offset0:104 offset1:224
	v_add_co_u32_e32 v7, vcc, s11, v7
	s_waitcnt lgkmcnt(0)
	v_lshrrev_b32_e32 v6, 16, v0
	s_waitcnt vmcnt(0)
	v_mul_f16_sdwa v9, v6, v5 dst_sel:DWORD dst_unused:UNUSED_PAD src0_sel:DWORD src1_sel:WORD_1
	v_fma_f16 v9, v0, v5, v9
	v_mul_f16_sdwa v0, v0, v5 dst_sel:DWORD dst_unused:UNUSED_PAD src0_sel:DWORD src1_sel:WORD_1
	v_cvt_f32_f16_e32 v9, v9
	v_fma_f16 v0, v5, v6, -v0
	v_cvt_f32_f16_e32 v0, v0
	v_cvt_f64_f32_e32 v[5:6], v9
	v_cvt_f64_f32_e32 v[9:10], v0
	v_mov_b32_e32 v0, s12
	v_mul_f64 v[5:6], v[5:6], s[14:15]
	v_addc_co_u32_e32 v8, vcc, v8, v0, vcc
	v_mul_f64 v[9:10], v[9:10], s[14:15]
	v_and_or_b32 v0, v6, s16, v5
	v_cmp_ne_u32_e32 vcc, 0, v0
	v_lshrrev_b32_e32 v5, 8, v6
	v_and_or_b32 v9, v10, s16, v9
	v_bfe_u32 v11, v6, 20, 11
	v_cndmask_b32_e64 v0, 0, 1, vcc
	v_cmp_ne_u32_e32 vcc, 0, v9
	v_lshrrev_b32_e32 v12, 8, v10
	v_bfe_u32 v13, v10, 20, 11
	v_sub_u32_e32 v14, 0x3f1, v11
	v_cndmask_b32_e64 v9, 0, 1, vcc
	v_and_or_b32 v0, v5, s10, v0
	v_sub_u32_e32 v15, 0x3f1, v13
	v_med3_i32 v5, v14, 0, 13
	v_and_or_b32 v9, v12, s10, v9
	v_or_b32_e32 v14, 0x1000, v0
	v_add_u32_e32 v11, 0xfffffc10, v11
	v_med3_i32 v12, v15, 0, 13
	v_cmp_ne_u32_e32 vcc, 0, v0
	v_or_b32_e32 v16, 0x1000, v9
	v_lshrrev_b32_e32 v18, v5, v14
	v_add_u32_e32 v13, 0xfffffc10, v13
	v_lshl_or_b32 v15, v11, 12, v0
	v_cndmask_b32_e64 v0, 0, 1, vcc
	v_cmp_ne_u32_e32 vcc, 0, v9
	v_lshrrev_b32_e32 v19, v12, v16
	v_lshlrev_b32_e32 v5, v5, v18
	v_lshl_or_b32 v17, v13, 12, v9
	v_cndmask_b32_e64 v9, 0, 1, vcc
	v_lshlrev_b32_e32 v12, v12, v19
	v_cmp_ne_u32_e32 vcc, v5, v14
	v_cndmask_b32_e64 v5, 0, 1, vcc
	v_cmp_ne_u32_e32 vcc, v12, v16
	v_cndmask_b32_e64 v12, 0, 1, vcc
	v_or_b32_e32 v5, v18, v5
	v_cmp_gt_i32_e32 vcc, 1, v11
	v_cndmask_b32_e32 v5, v15, v5, vcc
	v_or_b32_e32 v12, v19, v12
	v_cmp_gt_i32_e32 vcc, 1, v13
	v_and_b32_e32 v14, 7, v5
	v_cndmask_b32_e32 v12, v17, v12, vcc
	v_cmp_lt_i32_e32 vcc, 5, v14
	v_cmp_eq_u32_e64 s[0:1], 3, v14
	v_lshrrev_b32_e32 v5, 2, v5
	v_and_b32_e32 v15, 7, v12
	s_or_b64 vcc, s[0:1], vcc
	v_cmp_lt_i32_e64 s[2:3], 5, v15
	v_cmp_eq_u32_e64 s[4:5], 3, v15
	v_addc_co_u32_e32 v5, vcc, 0, v5, vcc
	v_lshrrev_b32_e32 v12, 2, v12
	s_or_b64 vcc, s[4:5], s[2:3]
	v_addc_co_u32_e32 v12, vcc, 0, v12, vcc
	v_cmp_gt_i32_e32 vcc, 31, v11
	v_cndmask_b32_e32 v5, v2, v5, vcc
	v_cmp_gt_i32_e32 vcc, 31, v13
	v_lshl_or_b32 v0, v0, 9, v2
	v_cndmask_b32_e32 v12, v2, v12, vcc
	v_cmp_eq_u32_e32 vcc, s18, v11
	v_lshrrev_b32_e32 v6, 16, v6
	v_lshl_or_b32 v9, v9, 9, v2
	v_cndmask_b32_e32 v0, v5, v0, vcc
	v_cmp_eq_u32_e32 vcc, s18, v13
	v_lshrrev_b32_e32 v10, 16, v10
	v_cndmask_b32_e32 v5, v12, v9, vcc
	v_and_or_b32 v0, v6, s17, v0
	v_and_or_b32 v5, v10, s17, v5
	v_and_b32_e32 v0, 0xffff, v0
	v_lshl_or_b32 v0, v5, 16, v0
	global_store_dword v[7:8], v0, off
	global_load_dword v0, v59, s[6:7] offset:1920
	v_lshrrev_b32_e32 v5, 16, v1
	v_mov_b32_e32 v9, s12
	v_add_co_u32_e32 v7, vcc, s11, v7
	v_addc_co_u32_e32 v8, vcc, v8, v9, vcc
	s_waitcnt vmcnt(0)
	v_mul_f16_sdwa v6, v5, v0 dst_sel:DWORD dst_unused:UNUSED_PAD src0_sel:DWORD src1_sel:WORD_1
	v_fma_f16 v6, v1, v0, v6
	v_mul_f16_sdwa v1, v1, v0 dst_sel:DWORD dst_unused:UNUSED_PAD src0_sel:DWORD src1_sel:WORD_1
	v_cvt_f32_f16_e32 v6, v6
	v_fma_f16 v0, v0, v5, -v1
	v_cvt_f32_f16_e32 v5, v0
	v_cvt_f64_f32_e32 v[0:1], v6
	v_cvt_f64_f32_e32 v[5:6], v5
	v_mul_f64 v[0:1], v[0:1], s[14:15]
	v_mul_f64 v[5:6], v[5:6], s[14:15]
	v_and_or_b32 v0, v1, s16, v0
	v_cmp_ne_u32_e32 vcc, 0, v0
	v_and_or_b32 v5, v6, s16, v5
	v_lshrrev_b32_e32 v9, 8, v1
	v_bfe_u32 v10, v1, 20, 11
	v_cndmask_b32_e64 v0, 0, 1, vcc
	v_cmp_ne_u32_e32 vcc, 0, v5
	v_lshrrev_b32_e32 v11, 8, v6
	v_bfe_u32 v12, v6, 20, 11
	v_sub_u32_e32 v13, 0x3f1, v10
	v_cndmask_b32_e64 v5, 0, 1, vcc
	v_and_or_b32 v0, v9, s10, v0
	v_sub_u32_e32 v14, 0x3f1, v12
	v_med3_i32 v9, v13, 0, 13
	v_and_or_b32 v5, v11, s10, v5
	v_or_b32_e32 v13, 0x1000, v0
	v_add_u32_e32 v10, 0xfffffc10, v10
	v_med3_i32 v11, v14, 0, 13
	v_cmp_ne_u32_e32 vcc, 0, v0
	v_or_b32_e32 v15, 0x1000, v5
	v_lshrrev_b32_e32 v17, v9, v13
	v_add_u32_e32 v12, 0xfffffc10, v12
	v_lshl_or_b32 v14, v10, 12, v0
	v_cndmask_b32_e64 v0, 0, 1, vcc
	v_cmp_ne_u32_e32 vcc, 0, v5
	v_lshrrev_b32_e32 v18, v11, v15
	v_lshlrev_b32_e32 v9, v9, v17
	v_lshl_or_b32 v16, v12, 12, v5
	v_cndmask_b32_e64 v5, 0, 1, vcc
	v_lshlrev_b32_e32 v11, v11, v18
	v_cmp_ne_u32_e32 vcc, v9, v13
	v_cndmask_b32_e64 v9, 0, 1, vcc
	v_cmp_ne_u32_e32 vcc, v11, v15
	v_cndmask_b32_e64 v11, 0, 1, vcc
	v_or_b32_e32 v9, v17, v9
	v_cmp_gt_i32_e32 vcc, 1, v10
	v_cndmask_b32_e32 v9, v14, v9, vcc
	v_or_b32_e32 v11, v18, v11
	v_cmp_gt_i32_e32 vcc, 1, v12
	v_and_b32_e32 v13, 7, v9
	v_cndmask_b32_e32 v11, v16, v11, vcc
	v_cmp_lt_i32_e32 vcc, 5, v13
	v_cmp_eq_u32_e64 s[0:1], 3, v13
	v_lshrrev_b32_e32 v9, 2, v9
	v_and_b32_e32 v14, 7, v11
	s_or_b64 vcc, s[0:1], vcc
	v_cmp_lt_i32_e64 s[2:3], 5, v14
	v_cmp_eq_u32_e64 s[4:5], 3, v14
	v_addc_co_u32_e32 v9, vcc, 0, v9, vcc
	v_lshrrev_b32_e32 v11, 2, v11
	s_or_b64 vcc, s[4:5], s[2:3]
	v_addc_co_u32_e32 v11, vcc, 0, v11, vcc
	v_cmp_gt_i32_e32 vcc, 31, v10
	v_cndmask_b32_e32 v9, v2, v9, vcc
	v_cmp_gt_i32_e32 vcc, 31, v12
	v_lshl_or_b32 v0, v0, 9, v2
	v_cndmask_b32_e32 v11, v2, v11, vcc
	v_cmp_eq_u32_e32 vcc, s18, v10
	v_lshrrev_b32_e32 v1, 16, v1
	v_lshl_or_b32 v5, v5, 9, v2
	v_cndmask_b32_e32 v0, v9, v0, vcc
	v_cmp_eq_u32_e32 vcc, s18, v12
	v_lshrrev_b32_e32 v6, 16, v6
	v_cndmask_b32_e32 v5, v11, v5, vcc
	v_and_or_b32 v0, v1, s17, v0
	v_and_or_b32 v1, v6, s17, v5
	v_and_b32_e32 v0, 0xffff, v0
	v_lshl_or_b32 v0, v1, 16, v0
	global_store_dword v[7:8], v0, off
	global_load_dword v5, v59, s[6:7] offset:2400
	v_add_u32_e32 v0, 0x800, v59
	ds_read2_b32 v[0:1], v0 offset0:88 offset1:208
	v_add_co_u32_e32 v7, vcc, s11, v7
	s_waitcnt lgkmcnt(0)
	v_lshrrev_b32_e32 v6, 16, v0
	s_waitcnt vmcnt(0)
	v_mul_f16_sdwa v9, v6, v5 dst_sel:DWORD dst_unused:UNUSED_PAD src0_sel:DWORD src1_sel:WORD_1
	v_fma_f16 v9, v0, v5, v9
	v_mul_f16_sdwa v0, v0, v5 dst_sel:DWORD dst_unused:UNUSED_PAD src0_sel:DWORD src1_sel:WORD_1
	v_cvt_f32_f16_e32 v9, v9
	v_fma_f16 v0, v5, v6, -v0
	v_cvt_f32_f16_e32 v0, v0
	v_cvt_f64_f32_e32 v[5:6], v9
	v_cvt_f64_f32_e32 v[9:10], v0
	v_mov_b32_e32 v0, s12
	v_mul_f64 v[5:6], v[5:6], s[14:15]
	v_addc_co_u32_e32 v8, vcc, v8, v0, vcc
	v_mul_f64 v[9:10], v[9:10], s[14:15]
	v_and_or_b32 v0, v6, s16, v5
	v_cmp_ne_u32_e32 vcc, 0, v0
	v_lshrrev_b32_e32 v5, 8, v6
	v_and_or_b32 v9, v10, s16, v9
	v_bfe_u32 v11, v6, 20, 11
	v_cndmask_b32_e64 v0, 0, 1, vcc
	v_cmp_ne_u32_e32 vcc, 0, v9
	v_lshrrev_b32_e32 v12, 8, v10
	v_bfe_u32 v13, v10, 20, 11
	v_sub_u32_e32 v14, 0x3f1, v11
	v_cndmask_b32_e64 v9, 0, 1, vcc
	v_and_or_b32 v0, v5, s10, v0
	v_sub_u32_e32 v15, 0x3f1, v13
	v_med3_i32 v5, v14, 0, 13
	v_and_or_b32 v9, v12, s10, v9
	v_or_b32_e32 v14, 0x1000, v0
	v_add_u32_e32 v11, 0xfffffc10, v11
	v_med3_i32 v12, v15, 0, 13
	v_cmp_ne_u32_e32 vcc, 0, v0
	v_or_b32_e32 v16, 0x1000, v9
	v_lshrrev_b32_e32 v18, v5, v14
	v_add_u32_e32 v13, 0xfffffc10, v13
	v_lshl_or_b32 v15, v11, 12, v0
	v_cndmask_b32_e64 v0, 0, 1, vcc
	v_cmp_ne_u32_e32 vcc, 0, v9
	v_lshrrev_b32_e32 v19, v12, v16
	v_lshlrev_b32_e32 v5, v5, v18
	v_lshl_or_b32 v17, v13, 12, v9
	v_cndmask_b32_e64 v9, 0, 1, vcc
	v_lshlrev_b32_e32 v12, v12, v19
	v_cmp_ne_u32_e32 vcc, v5, v14
	v_cndmask_b32_e64 v5, 0, 1, vcc
	v_cmp_ne_u32_e32 vcc, v12, v16
	v_cndmask_b32_e64 v12, 0, 1, vcc
	v_or_b32_e32 v5, v18, v5
	v_cmp_gt_i32_e32 vcc, 1, v11
	v_cndmask_b32_e32 v5, v15, v5, vcc
	v_or_b32_e32 v12, v19, v12
	v_cmp_gt_i32_e32 vcc, 1, v13
	v_and_b32_e32 v14, 7, v5
	v_cndmask_b32_e32 v12, v17, v12, vcc
	v_cmp_lt_i32_e32 vcc, 5, v14
	v_cmp_eq_u32_e64 s[0:1], 3, v14
	v_lshrrev_b32_e32 v5, 2, v5
	v_and_b32_e32 v15, 7, v12
	s_or_b64 vcc, s[0:1], vcc
	v_cmp_lt_i32_e64 s[2:3], 5, v15
	v_cmp_eq_u32_e64 s[4:5], 3, v15
	v_addc_co_u32_e32 v5, vcc, 0, v5, vcc
	v_lshrrev_b32_e32 v12, 2, v12
	s_or_b64 vcc, s[4:5], s[2:3]
	v_addc_co_u32_e32 v12, vcc, 0, v12, vcc
	v_cmp_gt_i32_e32 vcc, 31, v11
	v_cndmask_b32_e32 v5, v2, v5, vcc
	v_cmp_gt_i32_e32 vcc, 31, v13
	v_lshl_or_b32 v0, v0, 9, v2
	v_cndmask_b32_e32 v12, v2, v12, vcc
	v_cmp_eq_u32_e32 vcc, s18, v11
	v_lshrrev_b32_e32 v6, 16, v6
	v_lshl_or_b32 v9, v9, 9, v2
	v_cndmask_b32_e32 v0, v5, v0, vcc
	v_cmp_eq_u32_e32 vcc, s18, v13
	v_lshrrev_b32_e32 v10, 16, v10
	v_cndmask_b32_e32 v5, v12, v9, vcc
	v_and_or_b32 v0, v6, s17, v0
	v_and_or_b32 v5, v10, s17, v5
	v_and_b32_e32 v0, 0xffff, v0
	v_lshl_or_b32 v0, v5, 16, v0
	global_store_dword v[7:8], v0, off
	global_load_dword v0, v59, s[6:7] offset:2880
	v_lshrrev_b32_e32 v5, 16, v1
	v_mov_b32_e32 v9, s12
	v_add_co_u32_e32 v7, vcc, s11, v7
	v_addc_co_u32_e32 v8, vcc, v8, v9, vcc
	s_waitcnt vmcnt(0)
	v_mul_f16_sdwa v6, v5, v0 dst_sel:DWORD dst_unused:UNUSED_PAD src0_sel:DWORD src1_sel:WORD_1
	v_fma_f16 v6, v1, v0, v6
	v_mul_f16_sdwa v1, v1, v0 dst_sel:DWORD dst_unused:UNUSED_PAD src0_sel:DWORD src1_sel:WORD_1
	v_cvt_f32_f16_e32 v6, v6
	v_fma_f16 v0, v0, v5, -v1
	v_cvt_f32_f16_e32 v5, v0
	v_cvt_f64_f32_e32 v[0:1], v6
	v_cvt_f64_f32_e32 v[5:6], v5
	v_mul_f64 v[0:1], v[0:1], s[14:15]
	v_mul_f64 v[5:6], v[5:6], s[14:15]
	v_and_or_b32 v0, v1, s16, v0
	v_cmp_ne_u32_e32 vcc, 0, v0
	v_and_or_b32 v5, v6, s16, v5
	v_lshrrev_b32_e32 v9, 8, v1
	v_bfe_u32 v10, v1, 20, 11
	v_cndmask_b32_e64 v0, 0, 1, vcc
	v_cmp_ne_u32_e32 vcc, 0, v5
	v_lshrrev_b32_e32 v11, 8, v6
	v_bfe_u32 v12, v6, 20, 11
	v_sub_u32_e32 v13, 0x3f1, v10
	v_cndmask_b32_e64 v5, 0, 1, vcc
	v_and_or_b32 v0, v9, s10, v0
	v_sub_u32_e32 v14, 0x3f1, v12
	v_med3_i32 v9, v13, 0, 13
	v_and_or_b32 v5, v11, s10, v5
	v_or_b32_e32 v13, 0x1000, v0
	v_add_u32_e32 v10, 0xfffffc10, v10
	v_med3_i32 v11, v14, 0, 13
	v_cmp_ne_u32_e32 vcc, 0, v0
	v_or_b32_e32 v15, 0x1000, v5
	v_lshrrev_b32_e32 v17, v9, v13
	v_add_u32_e32 v12, 0xfffffc10, v12
	v_lshl_or_b32 v14, v10, 12, v0
	v_cndmask_b32_e64 v0, 0, 1, vcc
	v_cmp_ne_u32_e32 vcc, 0, v5
	v_lshrrev_b32_e32 v18, v11, v15
	v_lshlrev_b32_e32 v9, v9, v17
	v_lshl_or_b32 v16, v12, 12, v5
	v_cndmask_b32_e64 v5, 0, 1, vcc
	v_lshlrev_b32_e32 v11, v11, v18
	v_cmp_ne_u32_e32 vcc, v9, v13
	v_cndmask_b32_e64 v9, 0, 1, vcc
	v_cmp_ne_u32_e32 vcc, v11, v15
	v_cndmask_b32_e64 v11, 0, 1, vcc
	v_or_b32_e32 v9, v17, v9
	v_cmp_gt_i32_e32 vcc, 1, v10
	v_cndmask_b32_e32 v9, v14, v9, vcc
	v_or_b32_e32 v11, v18, v11
	v_cmp_gt_i32_e32 vcc, 1, v12
	v_and_b32_e32 v13, 7, v9
	v_cndmask_b32_e32 v11, v16, v11, vcc
	v_cmp_lt_i32_e32 vcc, 5, v13
	v_cmp_eq_u32_e64 s[0:1], 3, v13
	v_lshrrev_b32_e32 v9, 2, v9
	v_and_b32_e32 v14, 7, v11
	s_or_b64 vcc, s[0:1], vcc
	v_cmp_lt_i32_e64 s[2:3], 5, v14
	v_cmp_eq_u32_e64 s[4:5], 3, v14
	v_addc_co_u32_e32 v9, vcc, 0, v9, vcc
	v_lshrrev_b32_e32 v11, 2, v11
	s_or_b64 vcc, s[4:5], s[2:3]
	v_addc_co_u32_e32 v11, vcc, 0, v11, vcc
	v_cmp_gt_i32_e32 vcc, 31, v10
	v_cndmask_b32_e32 v9, v2, v9, vcc
	v_cmp_gt_i32_e32 vcc, 31, v12
	v_lshl_or_b32 v0, v0, 9, v2
	v_cndmask_b32_e32 v11, v2, v11, vcc
	v_cmp_eq_u32_e32 vcc, s18, v10
	v_lshrrev_b32_e32 v1, 16, v1
	v_lshl_or_b32 v5, v5, 9, v2
	v_cndmask_b32_e32 v0, v9, v0, vcc
	v_cmp_eq_u32_e32 vcc, s18, v12
	v_lshrrev_b32_e32 v6, 16, v6
	v_cndmask_b32_e32 v5, v11, v5, vcc
	v_and_or_b32 v0, v1, s17, v0
	v_and_or_b32 v1, v6, s17, v5
	v_and_b32_e32 v0, 0xffff, v0
	v_lshl_or_b32 v0, v1, 16, v0
	global_store_dword v[7:8], v0, off
	global_load_dword v5, v59, s[6:7] offset:3360
	v_add_u32_e32 v0, 0xc00, v59
	ds_read2_b32 v[0:1], v0 offset0:72 offset1:192
	v_add_co_u32_e32 v7, vcc, s11, v7
	s_waitcnt lgkmcnt(0)
	v_lshrrev_b32_e32 v6, 16, v0
	s_waitcnt vmcnt(0)
	v_mul_f16_sdwa v9, v6, v5 dst_sel:DWORD dst_unused:UNUSED_PAD src0_sel:DWORD src1_sel:WORD_1
	v_fma_f16 v9, v0, v5, v9
	v_mul_f16_sdwa v0, v0, v5 dst_sel:DWORD dst_unused:UNUSED_PAD src0_sel:DWORD src1_sel:WORD_1
	v_cvt_f32_f16_e32 v9, v9
	v_fma_f16 v0, v5, v6, -v0
	v_cvt_f32_f16_e32 v0, v0
	v_cvt_f64_f32_e32 v[5:6], v9
	v_cvt_f64_f32_e32 v[9:10], v0
	v_mov_b32_e32 v0, s12
	v_mul_f64 v[5:6], v[5:6], s[14:15]
	v_addc_co_u32_e32 v8, vcc, v8, v0, vcc
	v_mul_f64 v[9:10], v[9:10], s[14:15]
	v_and_or_b32 v0, v6, s16, v5
	v_cmp_ne_u32_e32 vcc, 0, v0
	v_lshrrev_b32_e32 v5, 8, v6
	v_and_or_b32 v9, v10, s16, v9
	v_bfe_u32 v11, v6, 20, 11
	v_cndmask_b32_e64 v0, 0, 1, vcc
	v_cmp_ne_u32_e32 vcc, 0, v9
	v_lshrrev_b32_e32 v12, 8, v10
	v_bfe_u32 v13, v10, 20, 11
	v_sub_u32_e32 v14, 0x3f1, v11
	v_cndmask_b32_e64 v9, 0, 1, vcc
	v_and_or_b32 v0, v5, s10, v0
	v_sub_u32_e32 v15, 0x3f1, v13
	v_med3_i32 v5, v14, 0, 13
	v_and_or_b32 v9, v12, s10, v9
	v_or_b32_e32 v14, 0x1000, v0
	v_add_u32_e32 v11, 0xfffffc10, v11
	v_med3_i32 v12, v15, 0, 13
	v_cmp_ne_u32_e32 vcc, 0, v0
	v_or_b32_e32 v16, 0x1000, v9
	v_lshrrev_b32_e32 v18, v5, v14
	v_add_u32_e32 v13, 0xfffffc10, v13
	v_lshl_or_b32 v15, v11, 12, v0
	v_cndmask_b32_e64 v0, 0, 1, vcc
	v_cmp_ne_u32_e32 vcc, 0, v9
	v_lshrrev_b32_e32 v19, v12, v16
	v_lshlrev_b32_e32 v5, v5, v18
	v_lshl_or_b32 v17, v13, 12, v9
	v_cndmask_b32_e64 v9, 0, 1, vcc
	v_lshlrev_b32_e32 v12, v12, v19
	v_cmp_ne_u32_e32 vcc, v5, v14
	v_cndmask_b32_e64 v5, 0, 1, vcc
	v_cmp_ne_u32_e32 vcc, v12, v16
	v_cndmask_b32_e64 v12, 0, 1, vcc
	v_or_b32_e32 v5, v18, v5
	v_cmp_gt_i32_e32 vcc, 1, v11
	v_cndmask_b32_e32 v5, v15, v5, vcc
	v_or_b32_e32 v12, v19, v12
	v_cmp_gt_i32_e32 vcc, 1, v13
	v_and_b32_e32 v14, 7, v5
	v_cndmask_b32_e32 v12, v17, v12, vcc
	v_cmp_lt_i32_e32 vcc, 5, v14
	v_cmp_eq_u32_e64 s[0:1], 3, v14
	v_lshrrev_b32_e32 v5, 2, v5
	v_and_b32_e32 v15, 7, v12
	s_or_b64 vcc, s[0:1], vcc
	v_cmp_lt_i32_e64 s[2:3], 5, v15
	v_cmp_eq_u32_e64 s[4:5], 3, v15
	v_addc_co_u32_e32 v5, vcc, 0, v5, vcc
	v_lshrrev_b32_e32 v12, 2, v12
	s_or_b64 vcc, s[4:5], s[2:3]
	v_addc_co_u32_e32 v12, vcc, 0, v12, vcc
	v_cmp_gt_i32_e32 vcc, 31, v11
	v_cndmask_b32_e32 v5, v2, v5, vcc
	v_cmp_gt_i32_e32 vcc, 31, v13
	v_lshl_or_b32 v0, v0, 9, v2
	v_cndmask_b32_e32 v12, v2, v12, vcc
	v_cmp_eq_u32_e32 vcc, s18, v11
	v_lshrrev_b32_e32 v6, 16, v6
	v_lshl_or_b32 v9, v9, 9, v2
	v_cndmask_b32_e32 v0, v5, v0, vcc
	v_cmp_eq_u32_e32 vcc, s18, v13
	v_lshrrev_b32_e32 v10, 16, v10
	v_cndmask_b32_e32 v5, v12, v9, vcc
	v_and_or_b32 v0, v6, s17, v0
	v_and_or_b32 v5, v10, s17, v5
	v_and_b32_e32 v0, 0xffff, v0
	v_lshl_or_b32 v0, v5, 16, v0
	global_store_dword v[7:8], v0, off
	global_load_dword v0, v59, s[6:7] offset:3840
	v_lshrrev_b32_e32 v6, 16, v1
	v_mov_b32_e32 v5, s7
	v_add_co_u32_e32 v11, vcc, s6, v59
	v_addc_co_u32_e32 v12, vcc, 0, v5, vcc
	s_movk_i32 s0, 0x1000
	v_mov_b32_e32 v13, s12
	s_waitcnt vmcnt(0)
	v_mul_f16_sdwa v9, v6, v0 dst_sel:DWORD dst_unused:UNUSED_PAD src0_sel:DWORD src1_sel:WORD_1
	v_fma_f16 v9, v1, v0, v9
	v_mul_f16_sdwa v1, v1, v0 dst_sel:DWORD dst_unused:UNUSED_PAD src0_sel:DWORD src1_sel:WORD_1
	v_cvt_f32_f16_e32 v9, v9
	v_fma_f16 v0, v0, v6, -v1
	v_cvt_f32_f16_e32 v6, v0
	v_cvt_f64_f32_e32 v[0:1], v9
	v_cvt_f64_f32_e32 v[5:6], v6
	v_mul_f64 v[9:10], v[0:1], s[14:15]
	v_add_co_u32_e32 v0, vcc, s0, v11
	v_mul_f64 v[5:6], v[5:6], s[14:15]
	v_addc_co_u32_e32 v1, vcc, 0, v12, vcc
	v_add_co_u32_e32 v7, vcc, s11, v7
	v_addc_co_u32_e32 v8, vcc, v8, v13, vcc
	v_and_or_b32 v9, v10, s16, v9
	v_and_or_b32 v5, v6, s16, v5
	v_cmp_ne_u32_e32 vcc, 0, v9
	v_lshrrev_b32_e32 v11, 8, v10
	v_bfe_u32 v12, v10, 20, 11
	v_cndmask_b32_e64 v9, 0, 1, vcc
	v_cmp_ne_u32_e32 vcc, 0, v5
	v_lshrrev_b32_e32 v13, 8, v6
	v_bfe_u32 v14, v6, 20, 11
	v_sub_u32_e32 v15, 0x3f1, v12
	v_cndmask_b32_e64 v5, 0, 1, vcc
	v_and_or_b32 v9, v11, s10, v9
	v_sub_u32_e32 v16, 0x3f1, v14
	v_med3_i32 v11, v15, 0, 13
	v_and_or_b32 v5, v13, s10, v5
	v_or_b32_e32 v15, 0x1000, v9
	v_add_u32_e32 v12, 0xfffffc10, v12
	v_med3_i32 v13, v16, 0, 13
	v_cmp_ne_u32_e32 vcc, 0, v9
	v_or_b32_e32 v17, 0x1000, v5
	v_lshrrev_b32_e32 v19, v11, v15
	v_add_u32_e32 v14, 0xfffffc10, v14
	v_lshl_or_b32 v16, v12, 12, v9
	v_cndmask_b32_e64 v9, 0, 1, vcc
	v_cmp_ne_u32_e32 vcc, 0, v5
	v_lshrrev_b32_e32 v20, v13, v17
	v_lshlrev_b32_e32 v11, v11, v19
	v_lshl_or_b32 v18, v14, 12, v5
	v_cndmask_b32_e64 v5, 0, 1, vcc
	v_lshlrev_b32_e32 v13, v13, v20
	v_cmp_ne_u32_e32 vcc, v11, v15
	v_cndmask_b32_e64 v11, 0, 1, vcc
	v_cmp_ne_u32_e32 vcc, v13, v17
	v_cndmask_b32_e64 v13, 0, 1, vcc
	v_or_b32_e32 v11, v19, v11
	v_cmp_gt_i32_e32 vcc, 1, v12
	v_cndmask_b32_e32 v11, v16, v11, vcc
	v_or_b32_e32 v13, v20, v13
	v_cmp_gt_i32_e32 vcc, 1, v14
	v_and_b32_e32 v15, 7, v11
	v_cndmask_b32_e32 v13, v18, v13, vcc
	v_cmp_lt_i32_e32 vcc, 5, v15
	v_cmp_eq_u32_e64 s[0:1], 3, v15
	v_lshrrev_b32_e32 v11, 2, v11
	v_and_b32_e32 v16, 7, v13
	s_or_b64 vcc, s[0:1], vcc
	v_cmp_lt_i32_e64 s[2:3], 5, v16
	v_cmp_eq_u32_e64 s[4:5], 3, v16
	v_addc_co_u32_e32 v11, vcc, 0, v11, vcc
	v_lshrrev_b32_e32 v13, 2, v13
	s_or_b64 vcc, s[4:5], s[2:3]
	v_addc_co_u32_e32 v13, vcc, 0, v13, vcc
	v_cmp_gt_i32_e32 vcc, 31, v12
	v_cndmask_b32_e32 v11, v2, v11, vcc
	v_cmp_gt_i32_e32 vcc, 31, v14
	v_lshl_or_b32 v9, v9, 9, v2
	v_cndmask_b32_e32 v13, v2, v13, vcc
	v_cmp_eq_u32_e32 vcc, s18, v12
	v_lshrrev_b32_e32 v10, 16, v10
	v_lshl_or_b32 v5, v5, 9, v2
	v_cndmask_b32_e32 v9, v11, v9, vcc
	v_cmp_eq_u32_e32 vcc, s18, v14
	v_lshrrev_b32_e32 v6, 16, v6
	v_cndmask_b32_e32 v5, v13, v5, vcc
	v_and_or_b32 v9, v10, s17, v9
	v_and_or_b32 v5, v6, s17, v5
	v_and_b32_e32 v6, 0xffff, v9
	v_lshl_or_b32 v5, v5, 16, v6
	global_store_dword v[7:8], v5, off
	global_load_dword v9, v[0:1], off offset:224
	v_add_u32_e32 v5, 0x1000, v59
	ds_read2_b32 v[5:6], v5 offset0:56 offset1:176
	v_add_co_u32_e32 v7, vcc, s11, v7
	s_waitcnt lgkmcnt(0)
	v_lshrrev_b32_e32 v10, 16, v5
	s_waitcnt vmcnt(0)
	v_mul_f16_sdwa v11, v10, v9 dst_sel:DWORD dst_unused:UNUSED_PAD src0_sel:DWORD src1_sel:WORD_1
	v_fma_f16 v11, v5, v9, v11
	v_mul_f16_sdwa v5, v5, v9 dst_sel:DWORD dst_unused:UNUSED_PAD src0_sel:DWORD src1_sel:WORD_1
	v_cvt_f32_f16_e32 v11, v11
	v_fma_f16 v5, v9, v10, -v5
	v_cvt_f32_f16_e32 v5, v5
	v_cvt_f64_f32_e32 v[9:10], v11
	v_cvt_f64_f32_e32 v[11:12], v5
	v_mov_b32_e32 v5, s12
	v_mul_f64 v[9:10], v[9:10], s[14:15]
	v_addc_co_u32_e32 v8, vcc, v8, v5, vcc
	v_mul_f64 v[11:12], v[11:12], s[14:15]
	v_and_or_b32 v5, v10, s16, v9
	v_cmp_ne_u32_e32 vcc, 0, v5
	v_lshrrev_b32_e32 v9, 8, v10
	v_and_or_b32 v11, v12, s16, v11
	v_bfe_u32 v13, v10, 20, 11
	v_cndmask_b32_e64 v5, 0, 1, vcc
	v_cmp_ne_u32_e32 vcc, 0, v11
	v_lshrrev_b32_e32 v14, 8, v12
	v_bfe_u32 v15, v12, 20, 11
	v_sub_u32_e32 v16, 0x3f1, v13
	v_cndmask_b32_e64 v11, 0, 1, vcc
	v_and_or_b32 v5, v9, s10, v5
	v_sub_u32_e32 v17, 0x3f1, v15
	v_med3_i32 v9, v16, 0, 13
	v_and_or_b32 v11, v14, s10, v11
	v_or_b32_e32 v16, 0x1000, v5
	v_add_u32_e32 v13, 0xfffffc10, v13
	v_med3_i32 v14, v17, 0, 13
	v_cmp_ne_u32_e32 vcc, 0, v5
	v_or_b32_e32 v18, 0x1000, v11
	v_lshrrev_b32_e32 v20, v9, v16
	v_add_u32_e32 v15, 0xfffffc10, v15
	v_lshl_or_b32 v17, v13, 12, v5
	v_cndmask_b32_e64 v5, 0, 1, vcc
	v_cmp_ne_u32_e32 vcc, 0, v11
	v_lshrrev_b32_e32 v21, v14, v18
	v_lshlrev_b32_e32 v9, v9, v20
	v_lshl_or_b32 v19, v15, 12, v11
	v_cndmask_b32_e64 v11, 0, 1, vcc
	v_lshlrev_b32_e32 v14, v14, v21
	v_cmp_ne_u32_e32 vcc, v9, v16
	v_cndmask_b32_e64 v9, 0, 1, vcc
	v_cmp_ne_u32_e32 vcc, v14, v18
	v_cndmask_b32_e64 v14, 0, 1, vcc
	v_or_b32_e32 v9, v20, v9
	v_cmp_gt_i32_e32 vcc, 1, v13
	v_cndmask_b32_e32 v9, v17, v9, vcc
	v_or_b32_e32 v14, v21, v14
	v_cmp_gt_i32_e32 vcc, 1, v15
	v_and_b32_e32 v16, 7, v9
	v_cndmask_b32_e32 v14, v19, v14, vcc
	v_cmp_lt_i32_e32 vcc, 5, v16
	v_cmp_eq_u32_e64 s[0:1], 3, v16
	v_lshrrev_b32_e32 v9, 2, v9
	v_and_b32_e32 v17, 7, v14
	s_or_b64 vcc, s[0:1], vcc
	v_cmp_lt_i32_e64 s[2:3], 5, v17
	v_cmp_eq_u32_e64 s[4:5], 3, v17
	v_addc_co_u32_e32 v9, vcc, 0, v9, vcc
	v_lshrrev_b32_e32 v14, 2, v14
	s_or_b64 vcc, s[4:5], s[2:3]
	v_addc_co_u32_e32 v14, vcc, 0, v14, vcc
	v_cmp_gt_i32_e32 vcc, 31, v13
	v_cndmask_b32_e32 v9, v2, v9, vcc
	v_cmp_gt_i32_e32 vcc, 31, v15
	v_lshl_or_b32 v5, v5, 9, v2
	v_cndmask_b32_e32 v14, v2, v14, vcc
	v_cmp_eq_u32_e32 vcc, s18, v13
	v_lshrrev_b32_e32 v10, 16, v10
	v_lshl_or_b32 v11, v11, 9, v2
	v_cndmask_b32_e32 v5, v9, v5, vcc
	v_cmp_eq_u32_e32 vcc, s18, v15
	v_lshrrev_b32_e32 v12, 16, v12
	v_cndmask_b32_e32 v9, v14, v11, vcc
	v_and_or_b32 v5, v10, s17, v5
	v_and_or_b32 v9, v12, s17, v9
	v_and_b32_e32 v5, 0xffff, v5
	v_lshl_or_b32 v5, v9, 16, v5
	global_store_dword v[7:8], v5, off
	global_load_dword v5, v[0:1], off offset:704
	v_lshrrev_b32_e32 v9, 16, v6
	v_mov_b32_e32 v11, s12
	v_add_co_u32_e32 v7, vcc, s11, v7
	v_addc_co_u32_e32 v8, vcc, v8, v11, vcc
	s_waitcnt vmcnt(0)
	v_mul_f16_sdwa v10, v9, v5 dst_sel:DWORD dst_unused:UNUSED_PAD src0_sel:DWORD src1_sel:WORD_1
	v_fma_f16 v10, v6, v5, v10
	v_mul_f16_sdwa v6, v6, v5 dst_sel:DWORD dst_unused:UNUSED_PAD src0_sel:DWORD src1_sel:WORD_1
	v_cvt_f32_f16_e32 v10, v10
	v_fma_f16 v5, v5, v9, -v6
	v_cvt_f32_f16_e32 v9, v5
	v_cvt_f64_f32_e32 v[5:6], v10
	v_cvt_f64_f32_e32 v[9:10], v9
	v_mul_f64 v[5:6], v[5:6], s[14:15]
	v_mul_f64 v[9:10], v[9:10], s[14:15]
	v_and_or_b32 v5, v6, s16, v5
	v_cmp_ne_u32_e32 vcc, 0, v5
	v_and_or_b32 v9, v10, s16, v9
	v_lshrrev_b32_e32 v11, 8, v6
	v_bfe_u32 v12, v6, 20, 11
	v_cndmask_b32_e64 v5, 0, 1, vcc
	v_cmp_ne_u32_e32 vcc, 0, v9
	v_lshrrev_b32_e32 v13, 8, v10
	v_bfe_u32 v14, v10, 20, 11
	v_sub_u32_e32 v15, 0x3f1, v12
	v_cndmask_b32_e64 v9, 0, 1, vcc
	v_and_or_b32 v5, v11, s10, v5
	v_sub_u32_e32 v16, 0x3f1, v14
	v_med3_i32 v11, v15, 0, 13
	v_and_or_b32 v9, v13, s10, v9
	v_or_b32_e32 v15, 0x1000, v5
	v_add_u32_e32 v12, 0xfffffc10, v12
	v_med3_i32 v13, v16, 0, 13
	v_cmp_ne_u32_e32 vcc, 0, v5
	v_or_b32_e32 v17, 0x1000, v9
	v_lshrrev_b32_e32 v19, v11, v15
	v_add_u32_e32 v14, 0xfffffc10, v14
	v_lshl_or_b32 v16, v12, 12, v5
	v_cndmask_b32_e64 v5, 0, 1, vcc
	v_cmp_ne_u32_e32 vcc, 0, v9
	v_lshrrev_b32_e32 v20, v13, v17
	v_lshlrev_b32_e32 v11, v11, v19
	v_lshl_or_b32 v18, v14, 12, v9
	v_cndmask_b32_e64 v9, 0, 1, vcc
	v_lshlrev_b32_e32 v13, v13, v20
	v_cmp_ne_u32_e32 vcc, v11, v15
	v_cndmask_b32_e64 v11, 0, 1, vcc
	v_cmp_ne_u32_e32 vcc, v13, v17
	v_cndmask_b32_e64 v13, 0, 1, vcc
	v_or_b32_e32 v11, v19, v11
	v_cmp_gt_i32_e32 vcc, 1, v12
	v_cndmask_b32_e32 v11, v16, v11, vcc
	v_or_b32_e32 v13, v20, v13
	v_cmp_gt_i32_e32 vcc, 1, v14
	v_and_b32_e32 v15, 7, v11
	v_cndmask_b32_e32 v13, v18, v13, vcc
	v_cmp_lt_i32_e32 vcc, 5, v15
	v_cmp_eq_u32_e64 s[0:1], 3, v15
	v_lshrrev_b32_e32 v11, 2, v11
	v_and_b32_e32 v16, 7, v13
	s_or_b64 vcc, s[0:1], vcc
	v_cmp_lt_i32_e64 s[2:3], 5, v16
	v_cmp_eq_u32_e64 s[4:5], 3, v16
	v_addc_co_u32_e32 v11, vcc, 0, v11, vcc
	v_lshrrev_b32_e32 v13, 2, v13
	s_or_b64 vcc, s[4:5], s[2:3]
	v_addc_co_u32_e32 v13, vcc, 0, v13, vcc
	v_cmp_gt_i32_e32 vcc, 31, v12
	v_cndmask_b32_e32 v11, v2, v11, vcc
	v_cmp_gt_i32_e32 vcc, 31, v14
	v_lshl_or_b32 v5, v5, 9, v2
	v_cndmask_b32_e32 v13, v2, v13, vcc
	v_cmp_eq_u32_e32 vcc, s18, v12
	v_lshrrev_b32_e32 v6, 16, v6
	v_lshl_or_b32 v9, v9, 9, v2
	v_cndmask_b32_e32 v5, v11, v5, vcc
	v_cmp_eq_u32_e32 vcc, s18, v14
	v_lshrrev_b32_e32 v10, 16, v10
	v_cndmask_b32_e32 v9, v13, v9, vcc
	v_and_or_b32 v5, v6, s17, v5
	v_and_or_b32 v6, v10, s17, v9
	v_and_b32_e32 v5, 0xffff, v5
	v_lshl_or_b32 v5, v6, 16, v5
	global_store_dword v[7:8], v5, off
	global_load_dword v9, v[0:1], off offset:1184
	v_add_u32_e32 v5, 0x1400, v59
	ds_read2_b32 v[5:6], v5 offset0:40 offset1:160
	v_add_co_u32_e32 v7, vcc, s11, v7
	s_waitcnt lgkmcnt(0)
	v_lshrrev_b32_e32 v10, 16, v5
	s_waitcnt vmcnt(0)
	v_mul_f16_sdwa v11, v10, v9 dst_sel:DWORD dst_unused:UNUSED_PAD src0_sel:DWORD src1_sel:WORD_1
	v_fma_f16 v11, v5, v9, v11
	v_mul_f16_sdwa v5, v5, v9 dst_sel:DWORD dst_unused:UNUSED_PAD src0_sel:DWORD src1_sel:WORD_1
	v_cvt_f32_f16_e32 v11, v11
	v_fma_f16 v5, v9, v10, -v5
	v_cvt_f32_f16_e32 v5, v5
	v_cvt_f64_f32_e32 v[9:10], v11
	v_cvt_f64_f32_e32 v[11:12], v5
	v_mov_b32_e32 v5, s12
	v_mul_f64 v[9:10], v[9:10], s[14:15]
	v_addc_co_u32_e32 v8, vcc, v8, v5, vcc
	v_mul_f64 v[11:12], v[11:12], s[14:15]
	v_and_or_b32 v5, v10, s16, v9
	v_cmp_ne_u32_e32 vcc, 0, v5
	v_lshrrev_b32_e32 v9, 8, v10
	v_and_or_b32 v11, v12, s16, v11
	v_bfe_u32 v13, v10, 20, 11
	v_cndmask_b32_e64 v5, 0, 1, vcc
	v_cmp_ne_u32_e32 vcc, 0, v11
	v_lshrrev_b32_e32 v14, 8, v12
	v_bfe_u32 v15, v12, 20, 11
	v_sub_u32_e32 v16, 0x3f1, v13
	v_cndmask_b32_e64 v11, 0, 1, vcc
	v_and_or_b32 v5, v9, s10, v5
	v_sub_u32_e32 v17, 0x3f1, v15
	v_med3_i32 v9, v16, 0, 13
	v_and_or_b32 v11, v14, s10, v11
	v_or_b32_e32 v16, 0x1000, v5
	v_add_u32_e32 v13, 0xfffffc10, v13
	v_med3_i32 v14, v17, 0, 13
	v_cmp_ne_u32_e32 vcc, 0, v5
	v_or_b32_e32 v18, 0x1000, v11
	v_lshrrev_b32_e32 v20, v9, v16
	v_add_u32_e32 v15, 0xfffffc10, v15
	v_lshl_or_b32 v17, v13, 12, v5
	v_cndmask_b32_e64 v5, 0, 1, vcc
	v_cmp_ne_u32_e32 vcc, 0, v11
	v_lshrrev_b32_e32 v21, v14, v18
	v_lshlrev_b32_e32 v9, v9, v20
	v_lshl_or_b32 v19, v15, 12, v11
	v_cndmask_b32_e64 v11, 0, 1, vcc
	v_lshlrev_b32_e32 v14, v14, v21
	v_cmp_ne_u32_e32 vcc, v9, v16
	v_cndmask_b32_e64 v9, 0, 1, vcc
	v_cmp_ne_u32_e32 vcc, v14, v18
	v_cndmask_b32_e64 v14, 0, 1, vcc
	v_or_b32_e32 v9, v20, v9
	v_cmp_gt_i32_e32 vcc, 1, v13
	v_cndmask_b32_e32 v9, v17, v9, vcc
	v_or_b32_e32 v14, v21, v14
	v_cmp_gt_i32_e32 vcc, 1, v15
	v_and_b32_e32 v16, 7, v9
	v_cndmask_b32_e32 v14, v19, v14, vcc
	v_cmp_lt_i32_e32 vcc, 5, v16
	v_cmp_eq_u32_e64 s[0:1], 3, v16
	v_lshrrev_b32_e32 v9, 2, v9
	v_and_b32_e32 v17, 7, v14
	s_or_b64 vcc, s[0:1], vcc
	v_cmp_lt_i32_e64 s[2:3], 5, v17
	v_cmp_eq_u32_e64 s[4:5], 3, v17
	v_addc_co_u32_e32 v9, vcc, 0, v9, vcc
	v_lshrrev_b32_e32 v14, 2, v14
	s_or_b64 vcc, s[4:5], s[2:3]
	v_addc_co_u32_e32 v14, vcc, 0, v14, vcc
	v_cmp_gt_i32_e32 vcc, 31, v13
	v_cndmask_b32_e32 v9, v2, v9, vcc
	v_cmp_gt_i32_e32 vcc, 31, v15
	v_lshl_or_b32 v5, v5, 9, v2
	v_cndmask_b32_e32 v14, v2, v14, vcc
	v_cmp_eq_u32_e32 vcc, s18, v13
	v_lshrrev_b32_e32 v10, 16, v10
	v_lshl_or_b32 v11, v11, 9, v2
	v_cndmask_b32_e32 v5, v9, v5, vcc
	v_cmp_eq_u32_e32 vcc, s18, v15
	v_lshrrev_b32_e32 v12, 16, v12
	v_cndmask_b32_e32 v9, v14, v11, vcc
	v_and_or_b32 v5, v10, s17, v5
	v_and_or_b32 v9, v12, s17, v9
	v_and_b32_e32 v5, 0xffff, v5
	v_lshl_or_b32 v5, v9, 16, v5
	global_store_dword v[7:8], v5, off
	global_load_dword v5, v[0:1], off offset:1664
	v_lshrrev_b32_e32 v9, 16, v6
	v_mov_b32_e32 v11, s12
	v_add_co_u32_e32 v7, vcc, s11, v7
	v_addc_co_u32_e32 v8, vcc, v8, v11, vcc
	s_waitcnt vmcnt(0)
	v_mul_f16_sdwa v10, v9, v5 dst_sel:DWORD dst_unused:UNUSED_PAD src0_sel:DWORD src1_sel:WORD_1
	v_fma_f16 v10, v6, v5, v10
	v_mul_f16_sdwa v6, v6, v5 dst_sel:DWORD dst_unused:UNUSED_PAD src0_sel:DWORD src1_sel:WORD_1
	v_cvt_f32_f16_e32 v10, v10
	v_fma_f16 v5, v5, v9, -v6
	v_cvt_f32_f16_e32 v9, v5
	v_cvt_f64_f32_e32 v[5:6], v10
	v_cvt_f64_f32_e32 v[9:10], v9
	v_mul_f64 v[5:6], v[5:6], s[14:15]
	v_mul_f64 v[9:10], v[9:10], s[14:15]
	v_and_or_b32 v5, v6, s16, v5
	v_cmp_ne_u32_e32 vcc, 0, v5
	v_and_or_b32 v9, v10, s16, v9
	v_lshrrev_b32_e32 v11, 8, v6
	v_bfe_u32 v12, v6, 20, 11
	v_cndmask_b32_e64 v5, 0, 1, vcc
	v_cmp_ne_u32_e32 vcc, 0, v9
	v_lshrrev_b32_e32 v13, 8, v10
	v_bfe_u32 v14, v10, 20, 11
	v_sub_u32_e32 v15, 0x3f1, v12
	v_cndmask_b32_e64 v9, 0, 1, vcc
	v_and_or_b32 v5, v11, s10, v5
	v_sub_u32_e32 v16, 0x3f1, v14
	v_med3_i32 v11, v15, 0, 13
	v_and_or_b32 v9, v13, s10, v9
	v_or_b32_e32 v15, 0x1000, v5
	v_add_u32_e32 v12, 0xfffffc10, v12
	v_med3_i32 v13, v16, 0, 13
	v_cmp_ne_u32_e32 vcc, 0, v5
	v_or_b32_e32 v17, 0x1000, v9
	v_lshrrev_b32_e32 v19, v11, v15
	v_add_u32_e32 v14, 0xfffffc10, v14
	v_lshl_or_b32 v16, v12, 12, v5
	v_cndmask_b32_e64 v5, 0, 1, vcc
	v_cmp_ne_u32_e32 vcc, 0, v9
	v_lshrrev_b32_e32 v20, v13, v17
	v_lshlrev_b32_e32 v11, v11, v19
	v_lshl_or_b32 v18, v14, 12, v9
	v_cndmask_b32_e64 v9, 0, 1, vcc
	v_lshlrev_b32_e32 v13, v13, v20
	v_cmp_ne_u32_e32 vcc, v11, v15
	v_cndmask_b32_e64 v11, 0, 1, vcc
	v_cmp_ne_u32_e32 vcc, v13, v17
	v_cndmask_b32_e64 v13, 0, 1, vcc
	v_or_b32_e32 v11, v19, v11
	v_cmp_gt_i32_e32 vcc, 1, v12
	v_cndmask_b32_e32 v11, v16, v11, vcc
	v_or_b32_e32 v13, v20, v13
	v_cmp_gt_i32_e32 vcc, 1, v14
	v_and_b32_e32 v15, 7, v11
	v_cndmask_b32_e32 v13, v18, v13, vcc
	v_cmp_lt_i32_e32 vcc, 5, v15
	v_cmp_eq_u32_e64 s[0:1], 3, v15
	v_lshrrev_b32_e32 v11, 2, v11
	v_and_b32_e32 v16, 7, v13
	s_or_b64 vcc, s[0:1], vcc
	v_cmp_lt_i32_e64 s[2:3], 5, v16
	v_cmp_eq_u32_e64 s[4:5], 3, v16
	v_addc_co_u32_e32 v11, vcc, 0, v11, vcc
	v_lshrrev_b32_e32 v13, 2, v13
	s_or_b64 vcc, s[4:5], s[2:3]
	v_addc_co_u32_e32 v13, vcc, 0, v13, vcc
	v_cmp_gt_i32_e32 vcc, 31, v12
	v_cndmask_b32_e32 v11, v2, v11, vcc
	v_cmp_gt_i32_e32 vcc, 31, v14
	v_lshl_or_b32 v5, v5, 9, v2
	v_cndmask_b32_e32 v13, v2, v13, vcc
	v_cmp_eq_u32_e32 vcc, s18, v12
	v_lshrrev_b32_e32 v6, 16, v6
	v_lshl_or_b32 v9, v9, 9, v2
	v_cndmask_b32_e32 v5, v11, v5, vcc
	v_cmp_eq_u32_e32 vcc, s18, v14
	v_lshrrev_b32_e32 v10, 16, v10
	v_cndmask_b32_e32 v9, v13, v9, vcc
	v_and_or_b32 v5, v6, s17, v5
	v_and_or_b32 v6, v10, s17, v9
	v_and_b32_e32 v5, 0xffff, v5
	v_lshl_or_b32 v5, v6, 16, v5
	global_store_dword v[7:8], v5, off
	global_load_dword v9, v[0:1], off offset:2144
	v_add_u32_e32 v5, 0x1800, v59
	ds_read2_b32 v[5:6], v5 offset0:24 offset1:144
	v_add_co_u32_e32 v7, vcc, s11, v7
	s_waitcnt lgkmcnt(0)
	v_lshrrev_b32_e32 v10, 16, v5
	s_waitcnt vmcnt(0)
	v_mul_f16_sdwa v11, v10, v9 dst_sel:DWORD dst_unused:UNUSED_PAD src0_sel:DWORD src1_sel:WORD_1
	v_fma_f16 v11, v5, v9, v11
	v_mul_f16_sdwa v5, v5, v9 dst_sel:DWORD dst_unused:UNUSED_PAD src0_sel:DWORD src1_sel:WORD_1
	v_cvt_f32_f16_e32 v11, v11
	v_fma_f16 v5, v9, v10, -v5
	v_cvt_f32_f16_e32 v5, v5
	v_cvt_f64_f32_e32 v[9:10], v11
	v_cvt_f64_f32_e32 v[11:12], v5
	v_mov_b32_e32 v5, s12
	v_mul_f64 v[9:10], v[9:10], s[14:15]
	v_addc_co_u32_e32 v8, vcc, v8, v5, vcc
	v_mul_f64 v[11:12], v[11:12], s[14:15]
	v_and_or_b32 v5, v10, s16, v9
	v_cmp_ne_u32_e32 vcc, 0, v5
	v_lshrrev_b32_e32 v9, 8, v10
	v_and_or_b32 v11, v12, s16, v11
	v_bfe_u32 v13, v10, 20, 11
	v_cndmask_b32_e64 v5, 0, 1, vcc
	v_cmp_ne_u32_e32 vcc, 0, v11
	v_lshrrev_b32_e32 v14, 8, v12
	v_bfe_u32 v15, v12, 20, 11
	v_sub_u32_e32 v16, 0x3f1, v13
	v_cndmask_b32_e64 v11, 0, 1, vcc
	v_and_or_b32 v5, v9, s10, v5
	v_sub_u32_e32 v17, 0x3f1, v15
	v_med3_i32 v9, v16, 0, 13
	v_and_or_b32 v11, v14, s10, v11
	v_or_b32_e32 v16, 0x1000, v5
	v_add_u32_e32 v13, 0xfffffc10, v13
	v_med3_i32 v14, v17, 0, 13
	v_cmp_ne_u32_e32 vcc, 0, v5
	v_or_b32_e32 v18, 0x1000, v11
	v_lshrrev_b32_e32 v20, v9, v16
	v_add_u32_e32 v15, 0xfffffc10, v15
	v_lshl_or_b32 v17, v13, 12, v5
	v_cndmask_b32_e64 v5, 0, 1, vcc
	v_cmp_ne_u32_e32 vcc, 0, v11
	v_lshrrev_b32_e32 v21, v14, v18
	v_lshlrev_b32_e32 v9, v9, v20
	v_lshl_or_b32 v19, v15, 12, v11
	v_cndmask_b32_e64 v11, 0, 1, vcc
	v_lshlrev_b32_e32 v14, v14, v21
	v_cmp_ne_u32_e32 vcc, v9, v16
	v_cndmask_b32_e64 v9, 0, 1, vcc
	v_cmp_ne_u32_e32 vcc, v14, v18
	v_cndmask_b32_e64 v14, 0, 1, vcc
	v_or_b32_e32 v9, v20, v9
	v_cmp_gt_i32_e32 vcc, 1, v13
	v_cndmask_b32_e32 v9, v17, v9, vcc
	v_or_b32_e32 v14, v21, v14
	v_cmp_gt_i32_e32 vcc, 1, v15
	v_and_b32_e32 v16, 7, v9
	v_cndmask_b32_e32 v14, v19, v14, vcc
	v_cmp_lt_i32_e32 vcc, 5, v16
	v_cmp_eq_u32_e64 s[0:1], 3, v16
	v_lshrrev_b32_e32 v9, 2, v9
	v_and_b32_e32 v17, 7, v14
	s_or_b64 vcc, s[0:1], vcc
	v_cmp_lt_i32_e64 s[2:3], 5, v17
	v_cmp_eq_u32_e64 s[4:5], 3, v17
	v_addc_co_u32_e32 v9, vcc, 0, v9, vcc
	v_lshrrev_b32_e32 v14, 2, v14
	s_or_b64 vcc, s[4:5], s[2:3]
	v_addc_co_u32_e32 v14, vcc, 0, v14, vcc
	v_cmp_gt_i32_e32 vcc, 31, v13
	v_cndmask_b32_e32 v9, v2, v9, vcc
	v_cmp_gt_i32_e32 vcc, 31, v15
	v_lshl_or_b32 v5, v5, 9, v2
	v_cndmask_b32_e32 v14, v2, v14, vcc
	v_cmp_eq_u32_e32 vcc, s18, v13
	v_lshrrev_b32_e32 v10, 16, v10
	v_lshl_or_b32 v11, v11, 9, v2
	v_cndmask_b32_e32 v5, v9, v5, vcc
	v_cmp_eq_u32_e32 vcc, s18, v15
	v_lshrrev_b32_e32 v12, 16, v12
	v_cndmask_b32_e32 v9, v14, v11, vcc
	v_and_or_b32 v5, v10, s17, v5
	v_and_or_b32 v9, v12, s17, v9
	v_and_b32_e32 v5, 0xffff, v5
	v_lshl_or_b32 v5, v9, 16, v5
	global_store_dword v[7:8], v5, off
	global_load_dword v5, v[0:1], off offset:2624
	v_lshrrev_b32_e32 v9, 16, v6
	v_mov_b32_e32 v11, s12
	v_add_co_u32_e32 v7, vcc, s11, v7
	v_addc_co_u32_e32 v8, vcc, v8, v11, vcc
	s_waitcnt vmcnt(0)
	v_mul_f16_sdwa v10, v9, v5 dst_sel:DWORD dst_unused:UNUSED_PAD src0_sel:DWORD src1_sel:WORD_1
	v_fma_f16 v10, v6, v5, v10
	v_mul_f16_sdwa v6, v6, v5 dst_sel:DWORD dst_unused:UNUSED_PAD src0_sel:DWORD src1_sel:WORD_1
	v_cvt_f32_f16_e32 v10, v10
	v_fma_f16 v5, v5, v9, -v6
	v_cvt_f32_f16_e32 v9, v5
	v_cvt_f64_f32_e32 v[5:6], v10
	v_cvt_f64_f32_e32 v[9:10], v9
	v_mul_f64 v[5:6], v[5:6], s[14:15]
	v_mul_f64 v[9:10], v[9:10], s[14:15]
	v_and_or_b32 v5, v6, s16, v5
	v_cmp_ne_u32_e32 vcc, 0, v5
	v_and_or_b32 v9, v10, s16, v9
	v_lshrrev_b32_e32 v11, 8, v6
	v_bfe_u32 v12, v6, 20, 11
	v_cndmask_b32_e64 v5, 0, 1, vcc
	v_cmp_ne_u32_e32 vcc, 0, v9
	v_lshrrev_b32_e32 v13, 8, v10
	v_bfe_u32 v14, v10, 20, 11
	v_sub_u32_e32 v15, 0x3f1, v12
	v_cndmask_b32_e64 v9, 0, 1, vcc
	v_and_or_b32 v5, v11, s10, v5
	v_sub_u32_e32 v16, 0x3f1, v14
	v_med3_i32 v11, v15, 0, 13
	v_and_or_b32 v9, v13, s10, v9
	v_or_b32_e32 v15, 0x1000, v5
	v_add_u32_e32 v12, 0xfffffc10, v12
	v_med3_i32 v13, v16, 0, 13
	v_cmp_ne_u32_e32 vcc, 0, v5
	v_or_b32_e32 v17, 0x1000, v9
	v_lshrrev_b32_e32 v19, v11, v15
	v_add_u32_e32 v14, 0xfffffc10, v14
	v_lshl_or_b32 v16, v12, 12, v5
	v_cndmask_b32_e64 v5, 0, 1, vcc
	v_cmp_ne_u32_e32 vcc, 0, v9
	v_lshrrev_b32_e32 v20, v13, v17
	v_lshlrev_b32_e32 v11, v11, v19
	v_lshl_or_b32 v18, v14, 12, v9
	v_cndmask_b32_e64 v9, 0, 1, vcc
	v_lshlrev_b32_e32 v13, v13, v20
	v_cmp_ne_u32_e32 vcc, v11, v15
	v_cndmask_b32_e64 v11, 0, 1, vcc
	v_cmp_ne_u32_e32 vcc, v13, v17
	v_cndmask_b32_e64 v13, 0, 1, vcc
	v_or_b32_e32 v11, v19, v11
	v_cmp_gt_i32_e32 vcc, 1, v12
	v_cndmask_b32_e32 v11, v16, v11, vcc
	v_or_b32_e32 v13, v20, v13
	v_cmp_gt_i32_e32 vcc, 1, v14
	v_and_b32_e32 v15, 7, v11
	v_cndmask_b32_e32 v13, v18, v13, vcc
	v_cmp_lt_i32_e32 vcc, 5, v15
	v_cmp_eq_u32_e64 s[0:1], 3, v15
	v_lshrrev_b32_e32 v11, 2, v11
	v_and_b32_e32 v16, 7, v13
	s_or_b64 vcc, s[0:1], vcc
	v_cmp_lt_i32_e64 s[2:3], 5, v16
	v_cmp_eq_u32_e64 s[4:5], 3, v16
	v_addc_co_u32_e32 v11, vcc, 0, v11, vcc
	v_lshrrev_b32_e32 v13, 2, v13
	s_or_b64 vcc, s[4:5], s[2:3]
	v_addc_co_u32_e32 v13, vcc, 0, v13, vcc
	v_cmp_gt_i32_e32 vcc, 31, v12
	v_cndmask_b32_e32 v11, v2, v11, vcc
	v_cmp_gt_i32_e32 vcc, 31, v14
	v_lshl_or_b32 v5, v5, 9, v2
	v_cndmask_b32_e32 v13, v2, v13, vcc
	v_cmp_eq_u32_e32 vcc, s18, v12
	v_lshrrev_b32_e32 v6, 16, v6
	v_lshl_or_b32 v9, v9, 9, v2
	v_cndmask_b32_e32 v5, v11, v5, vcc
	v_cmp_eq_u32_e32 vcc, s18, v14
	v_lshrrev_b32_e32 v10, 16, v10
	v_cndmask_b32_e32 v9, v13, v9, vcc
	v_and_or_b32 v5, v6, s17, v5
	v_and_or_b32 v6, v10, s17, v9
	v_and_b32_e32 v5, 0xffff, v5
	v_lshl_or_b32 v5, v6, 16, v5
	global_store_dword v[7:8], v5, off
	global_load_dword v5, v[0:1], off offset:3104
	v_add_u32_e32 v0, 0x1c00, v59
	ds_read2_b32 v[0:1], v0 offset0:8 offset1:128
	v_mov_b32_e32 v12, s12
	v_add_co_u32_e32 v7, vcc, s11, v7
	v_addc_co_u32_e32 v8, vcc, v8, v12, vcc
	s_waitcnt lgkmcnt(0)
	v_lshrrev_b32_e32 v6, 16, v0
	v_or_b32_e32 v11, 0x780, v231
	s_waitcnt vmcnt(0)
	v_mul_f16_sdwa v9, v6, v5 dst_sel:DWORD dst_unused:UNUSED_PAD src0_sel:DWORD src1_sel:WORD_1
	v_fma_f16 v9, v0, v5, v9
	v_mul_f16_sdwa v0, v0, v5 dst_sel:DWORD dst_unused:UNUSED_PAD src0_sel:DWORD src1_sel:WORD_1
	v_cvt_f32_f16_e32 v9, v9
	v_fma_f16 v0, v5, v6, -v0
	v_cvt_f32_f16_e32 v0, v0
	v_cvt_f64_f32_e32 v[5:6], v9
	v_cvt_f64_f32_e32 v[9:10], v0
	v_lshlrev_b32_e32 v0, 2, v11
	v_mul_f64 v[5:6], v[5:6], s[14:15]
	v_mul_f64 v[9:10], v[9:10], s[14:15]
	v_and_or_b32 v5, v6, s16, v5
	v_cmp_ne_u32_e32 vcc, 0, v5
	v_and_or_b32 v9, v10, s16, v9
	v_lshrrev_b32_e32 v12, 8, v6
	v_bfe_u32 v13, v6, 20, 11
	v_cndmask_b32_e64 v5, 0, 1, vcc
	v_cmp_ne_u32_e32 vcc, 0, v9
	v_lshrrev_b32_e32 v14, 8, v10
	v_bfe_u32 v15, v10, 20, 11
	v_sub_u32_e32 v16, 0x3f1, v13
	v_cndmask_b32_e64 v9, 0, 1, vcc
	v_and_or_b32 v5, v12, s10, v5
	v_sub_u32_e32 v17, 0x3f1, v15
	v_med3_i32 v12, v16, 0, 13
	v_and_or_b32 v9, v14, s10, v9
	v_or_b32_e32 v16, 0x1000, v5
	v_add_u32_e32 v13, 0xfffffc10, v13
	v_med3_i32 v14, v17, 0, 13
	v_cmp_ne_u32_e32 vcc, 0, v5
	v_or_b32_e32 v18, 0x1000, v9
	v_lshrrev_b32_e32 v20, v12, v16
	v_add_u32_e32 v15, 0xfffffc10, v15
	v_lshl_or_b32 v17, v13, 12, v5
	v_cndmask_b32_e64 v5, 0, 1, vcc
	v_cmp_ne_u32_e32 vcc, 0, v9
	v_lshrrev_b32_e32 v21, v14, v18
	v_lshlrev_b32_e32 v12, v12, v20
	v_lshl_or_b32 v19, v15, 12, v9
	v_cndmask_b32_e64 v9, 0, 1, vcc
	v_lshlrev_b32_e32 v14, v14, v21
	v_cmp_ne_u32_e32 vcc, v12, v16
	v_cndmask_b32_e64 v12, 0, 1, vcc
	v_cmp_ne_u32_e32 vcc, v14, v18
	v_cndmask_b32_e64 v14, 0, 1, vcc
	v_or_b32_e32 v12, v20, v12
	v_cmp_gt_i32_e32 vcc, 1, v13
	v_cndmask_b32_e32 v12, v17, v12, vcc
	v_or_b32_e32 v14, v21, v14
	v_cmp_gt_i32_e32 vcc, 1, v15
	v_and_b32_e32 v16, 7, v12
	v_cndmask_b32_e32 v14, v19, v14, vcc
	v_cmp_lt_i32_e32 vcc, 5, v16
	v_cmp_eq_u32_e64 s[0:1], 3, v16
	v_lshrrev_b32_e32 v12, 2, v12
	v_and_b32_e32 v17, 7, v14
	s_or_b64 vcc, s[0:1], vcc
	v_cmp_lt_i32_e64 s[2:3], 5, v17
	v_cmp_eq_u32_e64 s[4:5], 3, v17
	v_addc_co_u32_e32 v12, vcc, 0, v12, vcc
	v_lshrrev_b32_e32 v14, 2, v14
	s_or_b64 vcc, s[4:5], s[2:3]
	v_addc_co_u32_e32 v14, vcc, 0, v14, vcc
	v_cmp_gt_i32_e32 vcc, 31, v13
	v_cndmask_b32_e32 v12, v2, v12, vcc
	v_cmp_gt_i32_e32 vcc, 31, v15
	v_lshl_or_b32 v5, v5, 9, v2
	v_cndmask_b32_e32 v14, v2, v14, vcc
	v_cmp_eq_u32_e32 vcc, s18, v13
	v_lshrrev_b32_e32 v6, 16, v6
	v_lshl_or_b32 v9, v9, 9, v2
	v_cndmask_b32_e32 v5, v12, v5, vcc
	v_cmp_eq_u32_e32 vcc, s18, v15
	v_lshrrev_b32_e32 v10, 16, v10
	v_cndmask_b32_e32 v9, v14, v9, vcc
	v_and_or_b32 v5, v6, s17, v5
	v_and_or_b32 v6, v10, s17, v9
	v_and_b32_e32 v5, 0xffff, v5
	v_lshl_or_b32 v5, v6, 16, v5
	global_store_dword v[7:8], v5, off
	global_load_dword v0, v0, s[6:7]
	v_lshrrev_b32_e32 v7, 16, v1
	v_mad_u64_u32 v[5:6], s[0:1], s8, v11, 0
	s_waitcnt vmcnt(0)
	v_mul_f16_sdwa v8, v7, v0 dst_sel:DWORD dst_unused:UNUSED_PAD src0_sel:DWORD src1_sel:WORD_1
	v_fma_f16 v8, v1, v0, v8
	v_mul_f16_sdwa v1, v1, v0 dst_sel:DWORD dst_unused:UNUSED_PAD src0_sel:DWORD src1_sel:WORD_1
	v_cvt_f32_f16_e32 v8, v8
	v_fma_f16 v0, v0, v7, -v1
	v_cvt_f32_f16_e32 v7, v0
	v_cvt_f64_f32_e32 v[0:1], v8
	v_cvt_f64_f32_e32 v[7:8], v7
	v_mul_f64 v[0:1], v[0:1], s[14:15]
	v_mad_u64_u32 v[9:10], s[0:1], s9, v11, v[6:7]
	v_mul_f64 v[7:8], v[7:8], s[14:15]
	v_mov_b32_e32 v6, v9
	v_lshlrev_b64 v[5:6], 2, v[5:6]
	v_and_or_b32 v0, v1, s16, v0
	v_cmp_ne_u32_e32 vcc, 0, v0
	v_lshrrev_b32_e32 v9, 8, v1
	v_bfe_u32 v10, v1, 20, 11
	v_and_or_b32 v7, v8, s16, v7
	v_cndmask_b32_e64 v0, 0, 1, vcc
	v_cmp_ne_u32_e32 vcc, 0, v7
	v_lshrrev_b32_e32 v11, 8, v8
	v_bfe_u32 v12, v8, 20, 11
	v_sub_u32_e32 v13, 0x3f1, v10
	v_cndmask_b32_e64 v7, 0, 1, vcc
	v_and_or_b32 v0, v9, s10, v0
	v_sub_u32_e32 v14, 0x3f1, v12
	v_med3_i32 v9, v13, 0, 13
	v_and_or_b32 v7, v11, s10, v7
	v_or_b32_e32 v13, 0x1000, v0
	v_add_u32_e32 v10, 0xfffffc10, v10
	v_med3_i32 v11, v14, 0, 13
	v_cmp_ne_u32_e32 vcc, 0, v0
	v_or_b32_e32 v15, 0x1000, v7
	v_lshrrev_b32_e32 v17, v9, v13
	v_add_u32_e32 v12, 0xfffffc10, v12
	v_lshl_or_b32 v14, v10, 12, v0
	v_cndmask_b32_e64 v0, 0, 1, vcc
	v_cmp_ne_u32_e32 vcc, 0, v7
	v_lshrrev_b32_e32 v18, v11, v15
	v_lshlrev_b32_e32 v9, v9, v17
	v_lshl_or_b32 v16, v12, 12, v7
	v_cndmask_b32_e64 v7, 0, 1, vcc
	v_lshlrev_b32_e32 v11, v11, v18
	v_cmp_ne_u32_e32 vcc, v9, v13
	v_cndmask_b32_e64 v9, 0, 1, vcc
	v_cmp_ne_u32_e32 vcc, v11, v15
	v_cndmask_b32_e64 v11, 0, 1, vcc
	v_or_b32_e32 v9, v17, v9
	v_cmp_gt_i32_e32 vcc, 1, v10
	v_cndmask_b32_e32 v9, v14, v9, vcc
	v_or_b32_e32 v11, v18, v11
	v_cmp_gt_i32_e32 vcc, 1, v12
	v_and_b32_e32 v13, 7, v9
	v_cndmask_b32_e32 v11, v16, v11, vcc
	v_cmp_lt_i32_e32 vcc, 5, v13
	v_cmp_eq_u32_e64 s[0:1], 3, v13
	v_lshrrev_b32_e32 v9, 2, v9
	v_and_b32_e32 v14, 7, v11
	s_or_b64 vcc, s[0:1], vcc
	v_cmp_lt_i32_e64 s[2:3], 5, v14
	v_cmp_eq_u32_e64 s[4:5], 3, v14
	v_addc_co_u32_e32 v9, vcc, 0, v9, vcc
	v_lshrrev_b32_e32 v11, 2, v11
	s_or_b64 vcc, s[4:5], s[2:3]
	v_addc_co_u32_e32 v11, vcc, 0, v11, vcc
	v_cmp_gt_i32_e32 vcc, 31, v10
	v_cndmask_b32_e32 v9, v2, v9, vcc
	v_cmp_gt_i32_e32 vcc, 31, v12
	v_lshl_or_b32 v0, v0, 9, v2
	v_lshl_or_b32 v7, v7, 9, v2
	v_cndmask_b32_e32 v2, v2, v11, vcc
	v_cmp_eq_u32_e32 vcc, s18, v10
	v_lshrrev_b32_e32 v1, 16, v1
	v_cndmask_b32_e32 v0, v9, v0, vcc
	v_cmp_eq_u32_e32 vcc, s18, v12
	v_lshrrev_b32_e32 v8, 16, v8
	v_cndmask_b32_e32 v2, v2, v7, vcc
	v_and_or_b32 v0, v1, s17, v0
	v_and_or_b32 v1, v8, s17, v2
	v_and_b32_e32 v0, 0xffff, v0
	v_lshl_or_b32 v2, v1, 16, v0
	v_add_co_u32_e32 v0, vcc, v3, v5
	v_addc_co_u32_e32 v1, vcc, v4, v6, vcc
	global_store_dword v[0:1], v2, off
.LBB0_23:
	s_endpgm
	.section	.rodata,"a",@progbits
	.p2align	6, 0x0
	.amdhsa_kernel bluestein_single_fwd_len2040_dim1_half_op_CI_CI
		.amdhsa_group_segment_fixed_size 8160
		.amdhsa_private_segment_fixed_size 164
		.amdhsa_kernarg_size 104
		.amdhsa_user_sgpr_count 6
		.amdhsa_user_sgpr_private_segment_buffer 1
		.amdhsa_user_sgpr_dispatch_ptr 0
		.amdhsa_user_sgpr_queue_ptr 0
		.amdhsa_user_sgpr_kernarg_segment_ptr 1
		.amdhsa_user_sgpr_dispatch_id 0
		.amdhsa_user_sgpr_flat_scratch_init 0
		.amdhsa_user_sgpr_private_segment_size 0
		.amdhsa_uses_dynamic_stack 0
		.amdhsa_system_sgpr_private_segment_wavefront_offset 1
		.amdhsa_system_sgpr_workgroup_id_x 1
		.amdhsa_system_sgpr_workgroup_id_y 0
		.amdhsa_system_sgpr_workgroup_id_z 0
		.amdhsa_system_sgpr_workgroup_info 0
		.amdhsa_system_vgpr_workitem_id 0
		.amdhsa_next_free_vgpr 256
		.amdhsa_next_free_sgpr 56
		.amdhsa_reserve_vcc 1
		.amdhsa_reserve_flat_scratch 0
		.amdhsa_float_round_mode_32 0
		.amdhsa_float_round_mode_16_64 0
		.amdhsa_float_denorm_mode_32 3
		.amdhsa_float_denorm_mode_16_64 3
		.amdhsa_dx10_clamp 1
		.amdhsa_ieee_mode 1
		.amdhsa_fp16_overflow 0
		.amdhsa_exception_fp_ieee_invalid_op 0
		.amdhsa_exception_fp_denorm_src 0
		.amdhsa_exception_fp_ieee_div_zero 0
		.amdhsa_exception_fp_ieee_overflow 0
		.amdhsa_exception_fp_ieee_underflow 0
		.amdhsa_exception_fp_ieee_inexact 0
		.amdhsa_exception_int_div_zero 0
	.end_amdhsa_kernel
	.text
.Lfunc_end0:
	.size	bluestein_single_fwd_len2040_dim1_half_op_CI_CI, .Lfunc_end0-bluestein_single_fwd_len2040_dim1_half_op_CI_CI
                                        ; -- End function
	.section	.AMDGPU.csdata,"",@progbits
; Kernel info:
; codeLenInByte = 33024
; NumSgprs: 60
; NumVgprs: 256
; ScratchSize: 164
; MemoryBound: 0
; FloatMode: 240
; IeeeMode: 1
; LDSByteSize: 8160 bytes/workgroup (compile time only)
; SGPRBlocks: 7
; VGPRBlocks: 63
; NumSGPRsForWavesPerEU: 60
; NumVGPRsForWavesPerEU: 256
; Occupancy: 1
; WaveLimiterHint : 1
; COMPUTE_PGM_RSRC2:SCRATCH_EN: 1
; COMPUTE_PGM_RSRC2:USER_SGPR: 6
; COMPUTE_PGM_RSRC2:TRAP_HANDLER: 0
; COMPUTE_PGM_RSRC2:TGID_X_EN: 1
; COMPUTE_PGM_RSRC2:TGID_Y_EN: 0
; COMPUTE_PGM_RSRC2:TGID_Z_EN: 0
; COMPUTE_PGM_RSRC2:TIDIG_COMP_CNT: 0
	.type	__hip_cuid_bbb235de53ab6751,@object ; @__hip_cuid_bbb235de53ab6751
	.section	.bss,"aw",@nobits
	.globl	__hip_cuid_bbb235de53ab6751
__hip_cuid_bbb235de53ab6751:
	.byte	0                               ; 0x0
	.size	__hip_cuid_bbb235de53ab6751, 1

	.ident	"AMD clang version 19.0.0git (https://github.com/RadeonOpenCompute/llvm-project roc-6.4.0 25133 c7fe45cf4b819c5991fe208aaa96edf142730f1d)"
	.section	".note.GNU-stack","",@progbits
	.addrsig
	.addrsig_sym __hip_cuid_bbb235de53ab6751
	.amdgpu_metadata
---
amdhsa.kernels:
  - .args:
      - .actual_access:  read_only
        .address_space:  global
        .offset:         0
        .size:           8
        .value_kind:     global_buffer
      - .actual_access:  read_only
        .address_space:  global
        .offset:         8
        .size:           8
        .value_kind:     global_buffer
      - .actual_access:  read_only
        .address_space:  global
        .offset:         16
        .size:           8
        .value_kind:     global_buffer
      - .actual_access:  read_only
        .address_space:  global
        .offset:         24
        .size:           8
        .value_kind:     global_buffer
      - .actual_access:  read_only
        .address_space:  global
        .offset:         32
        .size:           8
        .value_kind:     global_buffer
      - .offset:         40
        .size:           8
        .value_kind:     by_value
      - .address_space:  global
        .offset:         48
        .size:           8
        .value_kind:     global_buffer
      - .address_space:  global
        .offset:         56
        .size:           8
        .value_kind:     global_buffer
      - .address_space:  global
        .offset:         64
        .size:           8
        .value_kind:     global_buffer
      - .address_space:  global
        .offset:         72
        .size:           8
        .value_kind:     global_buffer
      - .offset:         80
        .size:           4
        .value_kind:     by_value
      - .address_space:  global
        .offset:         88
        .size:           8
        .value_kind:     global_buffer
      - .address_space:  global
        .offset:         96
        .size:           8
        .value_kind:     global_buffer
    .group_segment_fixed_size: 8160
    .kernarg_segment_align: 8
    .kernarg_segment_size: 104
    .language:       OpenCL C
    .language_version:
      - 2
      - 0
    .max_flat_workgroup_size: 170
    .name:           bluestein_single_fwd_len2040_dim1_half_op_CI_CI
    .private_segment_fixed_size: 164
    .sgpr_count:     60
    .sgpr_spill_count: 0
    .symbol:         bluestein_single_fwd_len2040_dim1_half_op_CI_CI.kd
    .uniform_work_group_size: 1
    .uses_dynamic_stack: false
    .vgpr_count:     256
    .vgpr_spill_count: 40
    .wavefront_size: 64
amdhsa.target:   amdgcn-amd-amdhsa--gfx906
amdhsa.version:
  - 1
  - 2
...

	.end_amdgpu_metadata
